;; amdgpu-corpus repo=ROCm/rocFFT kind=compiled arch=gfx1030 opt=O3
	.text
	.amdgcn_target "amdgcn-amd-amdhsa--gfx1030"
	.amdhsa_code_object_version 6
	.protected	fft_rtc_back_len2040_factors_17_4_3_10_wgs_170_tpt_170_halfLds_dp_ip_CI_unitstride_sbrr_dirReg ; -- Begin function fft_rtc_back_len2040_factors_17_4_3_10_wgs_170_tpt_170_halfLds_dp_ip_CI_unitstride_sbrr_dirReg
	.globl	fft_rtc_back_len2040_factors_17_4_3_10_wgs_170_tpt_170_halfLds_dp_ip_CI_unitstride_sbrr_dirReg
	.p2align	8
	.type	fft_rtc_back_len2040_factors_17_4_3_10_wgs_170_tpt_170_halfLds_dp_ip_CI_unitstride_sbrr_dirReg,@function
fft_rtc_back_len2040_factors_17_4_3_10_wgs_170_tpt_170_halfLds_dp_ip_CI_unitstride_sbrr_dirReg: ; @fft_rtc_back_len2040_factors_17_4_3_10_wgs_170_tpt_170_halfLds_dp_ip_CI_unitstride_sbrr_dirReg
; %bb.0:
	s_clause 0x2
	s_load_dwordx4 s[8:11], s[4:5], 0x0
	s_load_dwordx2 s[2:3], s[4:5], 0x50
	s_load_dwordx2 s[12:13], s[4:5], 0x18
	v_mul_u32_u24_e32 v1, 0x182, v0
	v_mov_b32_e32 v3, 0
	v_add_nc_u32_sdwa v5, s6, v1 dst_sel:DWORD dst_unused:UNUSED_PAD src0_sel:DWORD src1_sel:WORD_1
	v_mov_b32_e32 v1, 0
	v_mov_b32_e32 v6, v3
	v_mov_b32_e32 v2, 0
	s_waitcnt lgkmcnt(0)
	v_cmp_lt_u64_e64 s0, s[10:11], 2
	s_and_b32 vcc_lo, exec_lo, s0
	s_cbranch_vccnz .LBB0_8
; %bb.1:
	s_load_dwordx2 s[0:1], s[4:5], 0x10
	v_mov_b32_e32 v1, 0
	s_add_u32 s6, s12, 8
	v_mov_b32_e32 v2, 0
	s_addc_u32 s7, s13, 0
	s_mov_b64 s[16:17], 1
	s_waitcnt lgkmcnt(0)
	s_add_u32 s14, s0, 8
	s_addc_u32 s15, s1, 0
.LBB0_2:                                ; =>This Inner Loop Header: Depth=1
	s_load_dwordx2 s[18:19], s[14:15], 0x0
                                        ; implicit-def: $vgpr7_vgpr8
	s_mov_b32 s0, exec_lo
	s_waitcnt lgkmcnt(0)
	v_or_b32_e32 v4, s19, v6
	v_cmpx_ne_u64_e32 0, v[3:4]
	s_xor_b32 s1, exec_lo, s0
	s_cbranch_execz .LBB0_4
; %bb.3:                                ;   in Loop: Header=BB0_2 Depth=1
	v_cvt_f32_u32_e32 v4, s18
	v_cvt_f32_u32_e32 v7, s19
	s_sub_u32 s0, 0, s18
	s_subb_u32 s20, 0, s19
	v_fmac_f32_e32 v4, 0x4f800000, v7
	v_rcp_f32_e32 v4, v4
	v_mul_f32_e32 v4, 0x5f7ffffc, v4
	v_mul_f32_e32 v7, 0x2f800000, v4
	v_trunc_f32_e32 v7, v7
	v_fmac_f32_e32 v4, 0xcf800000, v7
	v_cvt_u32_f32_e32 v7, v7
	v_cvt_u32_f32_e32 v4, v4
	v_mul_lo_u32 v8, s0, v7
	v_mul_hi_u32 v9, s0, v4
	v_mul_lo_u32 v10, s20, v4
	v_add_nc_u32_e32 v8, v9, v8
	v_mul_lo_u32 v9, s0, v4
	v_add_nc_u32_e32 v8, v8, v10
	v_mul_hi_u32 v10, v4, v9
	v_mul_lo_u32 v11, v4, v8
	v_mul_hi_u32 v12, v4, v8
	v_mul_hi_u32 v13, v7, v9
	v_mul_lo_u32 v9, v7, v9
	v_mul_hi_u32 v14, v7, v8
	v_mul_lo_u32 v8, v7, v8
	v_add_co_u32 v10, vcc_lo, v10, v11
	v_add_co_ci_u32_e32 v11, vcc_lo, 0, v12, vcc_lo
	v_add_co_u32 v9, vcc_lo, v10, v9
	v_add_co_ci_u32_e32 v9, vcc_lo, v11, v13, vcc_lo
	v_add_co_ci_u32_e32 v10, vcc_lo, 0, v14, vcc_lo
	v_add_co_u32 v8, vcc_lo, v9, v8
	v_add_co_ci_u32_e32 v9, vcc_lo, 0, v10, vcc_lo
	v_add_co_u32 v4, vcc_lo, v4, v8
	v_add_co_ci_u32_e32 v7, vcc_lo, v7, v9, vcc_lo
	v_mul_hi_u32 v8, s0, v4
	v_mul_lo_u32 v10, s20, v4
	v_mul_lo_u32 v9, s0, v7
	v_add_nc_u32_e32 v8, v8, v9
	v_mul_lo_u32 v9, s0, v4
	v_add_nc_u32_e32 v8, v8, v10
	v_mul_hi_u32 v10, v4, v9
	v_mul_lo_u32 v11, v4, v8
	v_mul_hi_u32 v12, v4, v8
	v_mul_hi_u32 v13, v7, v9
	v_mul_lo_u32 v9, v7, v9
	v_mul_hi_u32 v14, v7, v8
	v_mul_lo_u32 v8, v7, v8
	v_add_co_u32 v10, vcc_lo, v10, v11
	v_add_co_ci_u32_e32 v11, vcc_lo, 0, v12, vcc_lo
	v_add_co_u32 v9, vcc_lo, v10, v9
	v_add_co_ci_u32_e32 v9, vcc_lo, v11, v13, vcc_lo
	v_add_co_ci_u32_e32 v10, vcc_lo, 0, v14, vcc_lo
	v_add_co_u32 v8, vcc_lo, v9, v8
	v_add_co_ci_u32_e32 v9, vcc_lo, 0, v10, vcc_lo
	v_add_co_u32 v4, vcc_lo, v4, v8
	v_add_co_ci_u32_e32 v11, vcc_lo, v7, v9, vcc_lo
	v_mul_hi_u32 v13, v5, v4
	v_mad_u64_u32 v[9:10], null, v6, v4, 0
	v_mad_u64_u32 v[7:8], null, v5, v11, 0
	;; [unrolled: 1-line block ×3, first 2 shown]
	v_add_co_u32 v4, vcc_lo, v13, v7
	v_add_co_ci_u32_e32 v7, vcc_lo, 0, v8, vcc_lo
	v_add_co_u32 v4, vcc_lo, v4, v9
	v_add_co_ci_u32_e32 v4, vcc_lo, v7, v10, vcc_lo
	v_add_co_ci_u32_e32 v7, vcc_lo, 0, v12, vcc_lo
	v_add_co_u32 v4, vcc_lo, v4, v11
	v_add_co_ci_u32_e32 v9, vcc_lo, 0, v7, vcc_lo
	v_mul_lo_u32 v10, s19, v4
	v_mad_u64_u32 v[7:8], null, s18, v4, 0
	v_mul_lo_u32 v11, s18, v9
	v_sub_co_u32 v7, vcc_lo, v5, v7
	v_add3_u32 v8, v8, v11, v10
	v_sub_nc_u32_e32 v10, v6, v8
	v_subrev_co_ci_u32_e64 v10, s0, s19, v10, vcc_lo
	v_add_co_u32 v11, s0, v4, 2
	v_add_co_ci_u32_e64 v12, s0, 0, v9, s0
	v_sub_co_u32 v13, s0, v7, s18
	v_sub_co_ci_u32_e32 v8, vcc_lo, v6, v8, vcc_lo
	v_subrev_co_ci_u32_e64 v10, s0, 0, v10, s0
	v_cmp_le_u32_e32 vcc_lo, s18, v13
	v_cmp_eq_u32_e64 s0, s19, v8
	v_cndmask_b32_e64 v13, 0, -1, vcc_lo
	v_cmp_le_u32_e32 vcc_lo, s19, v10
	v_cndmask_b32_e64 v14, 0, -1, vcc_lo
	v_cmp_le_u32_e32 vcc_lo, s18, v7
	;; [unrolled: 2-line block ×3, first 2 shown]
	v_cndmask_b32_e64 v15, 0, -1, vcc_lo
	v_cmp_eq_u32_e32 vcc_lo, s19, v10
	v_cndmask_b32_e64 v7, v15, v7, s0
	v_cndmask_b32_e32 v10, v14, v13, vcc_lo
	v_add_co_u32 v13, vcc_lo, v4, 1
	v_add_co_ci_u32_e32 v14, vcc_lo, 0, v9, vcc_lo
	v_cmp_ne_u32_e32 vcc_lo, 0, v10
	v_cndmask_b32_e32 v8, v14, v12, vcc_lo
	v_cndmask_b32_e32 v10, v13, v11, vcc_lo
	v_cmp_ne_u32_e32 vcc_lo, 0, v7
	v_cndmask_b32_e32 v8, v9, v8, vcc_lo
	v_cndmask_b32_e32 v7, v4, v10, vcc_lo
.LBB0_4:                                ;   in Loop: Header=BB0_2 Depth=1
	s_andn2_saveexec_b32 s0, s1
	s_cbranch_execz .LBB0_6
; %bb.5:                                ;   in Loop: Header=BB0_2 Depth=1
	v_cvt_f32_u32_e32 v4, s18
	s_sub_i32 s1, 0, s18
	v_rcp_iflag_f32_e32 v4, v4
	v_mul_f32_e32 v4, 0x4f7ffffe, v4
	v_cvt_u32_f32_e32 v4, v4
	v_mul_lo_u32 v7, s1, v4
	v_mul_hi_u32 v7, v4, v7
	v_add_nc_u32_e32 v4, v4, v7
	v_mul_hi_u32 v4, v5, v4
	v_mul_lo_u32 v7, v4, s18
	v_add_nc_u32_e32 v8, 1, v4
	v_sub_nc_u32_e32 v7, v5, v7
	v_subrev_nc_u32_e32 v9, s18, v7
	v_cmp_le_u32_e32 vcc_lo, s18, v7
	v_cndmask_b32_e32 v7, v7, v9, vcc_lo
	v_cndmask_b32_e32 v4, v4, v8, vcc_lo
	v_cmp_le_u32_e32 vcc_lo, s18, v7
	v_add_nc_u32_e32 v8, 1, v4
	v_cndmask_b32_e32 v7, v4, v8, vcc_lo
	v_mov_b32_e32 v8, v3
.LBB0_6:                                ;   in Loop: Header=BB0_2 Depth=1
	s_or_b32 exec_lo, exec_lo, s0
	s_load_dwordx2 s[0:1], s[6:7], 0x0
	v_mul_lo_u32 v4, v8, s18
	v_mul_lo_u32 v11, v7, s19
	v_mad_u64_u32 v[9:10], null, v7, s18, 0
	s_add_u32 s16, s16, 1
	s_addc_u32 s17, s17, 0
	s_add_u32 s6, s6, 8
	s_addc_u32 s7, s7, 0
	;; [unrolled: 2-line block ×3, first 2 shown]
	v_add3_u32 v4, v10, v11, v4
	v_sub_co_u32 v5, vcc_lo, v5, v9
	v_sub_co_ci_u32_e32 v4, vcc_lo, v6, v4, vcc_lo
	s_waitcnt lgkmcnt(0)
	v_mul_lo_u32 v6, s1, v5
	v_mul_lo_u32 v4, s0, v4
	v_mad_u64_u32 v[1:2], null, s0, v5, v[1:2]
	v_cmp_ge_u64_e64 s0, s[16:17], s[10:11]
	s_and_b32 vcc_lo, exec_lo, s0
	v_add3_u32 v2, v6, v2, v4
	s_cbranch_vccnz .LBB0_9
; %bb.7:                                ;   in Loop: Header=BB0_2 Depth=1
	v_mov_b32_e32 v5, v7
	v_mov_b32_e32 v6, v8
	s_branch .LBB0_2
.LBB0_8:
	v_mov_b32_e32 v8, v6
	v_mov_b32_e32 v7, v5
.LBB0_9:
	s_lshl_b64 s[0:1], s[10:11], 3
	v_mul_hi_u32 v3, 0x1818182, v0
	s_add_u32 s0, s12, s0
	s_addc_u32 s1, s13, s1
                                        ; implicit-def: $vgpr60_vgpr61
                                        ; implicit-def: $vgpr64_vgpr65
                                        ; implicit-def: $vgpr80_vgpr81
                                        ; implicit-def: $vgpr76_vgpr77
                                        ; implicit-def: $vgpr32_vgpr33
                                        ; implicit-def: $vgpr56_vgpr57
                                        ; implicit-def: $vgpr14_vgpr15
                                        ; implicit-def: $vgpr28_vgpr29
                                        ; implicit-def: $vgpr36_vgpr37
                                        ; implicit-def: $vgpr40_vgpr41
                                        ; implicit-def: $vgpr44_vgpr45
                                        ; implicit-def: $vgpr48_vgpr49
                                        ; implicit-def: $vgpr52_vgpr53
                                        ; implicit-def: $vgpr72_vgpr73
                                        ; implicit-def: $vgpr84_vgpr85
                                        ; implicit-def: $vgpr68_vgpr69
                                        ; implicit-def: $vgpr24_vgpr25
	s_load_dwordx2 s[0:1], s[0:1], 0x0
	s_load_dwordx2 s[4:5], s[4:5], 0x20
	v_mul_u32_u24_e32 v3, 0xaa, v3
	v_sub_nc_u32_e32 v110, v0, v3
	s_waitcnt lgkmcnt(0)
	v_mul_lo_u32 v4, s0, v8
	v_mul_lo_u32 v5, s1, v7
	v_mad_u64_u32 v[1:2], null, s0, v7, v[1:2]
	v_cmp_gt_u64_e32 vcc_lo, s[4:5], v[7:8]
	v_cmp_gt_u32_e64 s0, 0x78, v110
	s_and_b32 s1, vcc_lo, s0
	v_add3_u32 v2, v5, v2, v4
	v_lshlrev_b64 v[112:113], 4, v[1:2]
	s_and_saveexec_b32 s4, s1
	s_cbranch_execz .LBB0_11
; %bb.10:
	v_mov_b32_e32 v111, 0
	v_add_co_u32 v14, s1, s2, v112
	v_add_co_ci_u32_e64 v15, s1, s3, v113, s1
	v_lshlrev_b64 v[0:1], 4, v[110:111]
	v_add_co_u32 v0, s1, v14, v0
	v_add_co_ci_u32_e64 v1, s1, v15, v1, s1
	v_add_co_u32 v2, s1, 0x800, v0
	v_add_co_ci_u32_e64 v3, s1, 0, v1, s1
	;; [unrolled: 2-line block ×3, first 2 shown]
	s_clause 0x3
	global_load_dwordx4 v[22:25], v[0:1], off
	global_load_dwordx4 v[58:61], v[0:1], off offset:1920
	global_load_dwordx4 v[62:65], v[2:3], off offset:1792
	;; [unrolled: 1-line block ×3, first 2 shown]
	v_add_co_u32 v2, s1, 0x1800, v0
	v_add_co_ci_u32_e64 v3, s1, 0, v1, s1
	v_add_co_u32 v4, s1, 0x2000, v0
	v_add_co_ci_u32_e64 v5, s1, 0, v1, s1
	v_add_co_u32 v6, s1, 0x2800, v0
	v_add_co_ci_u32_e64 v7, s1, 0, v1, s1
	v_add_co_u32 v8, s1, 0x3000, v0
	v_add_co_ci_u32_e64 v9, s1, 0, v1, s1
	v_add_co_u32 v10, s1, 0x3800, v0
	v_add_co_ci_u32_e64 v11, s1, 0, v1, s1
	v_add_co_u32 v12, s1, 0x4000, v0
	v_add_co_ci_u32_e64 v13, s1, 0, v1, s1
	s_clause 0x5
	global_load_dwordx4 v[82:85], v[2:3], off offset:1536
	global_load_dwordx4 v[78:81], v[4:5], off offset:1408
	;; [unrolled: 1-line block ×6, first 2 shown]
	v_add_co_u32 v2, s1, 0x4800, v0
	v_or_b32_e32 v6, 0x780, v110
	v_mov_b32_e32 v7, v111
	v_add_co_ci_u32_e64 v3, s1, 0, v1, s1
	v_add_co_u32 v4, s1, 0x5000, v0
	v_add_co_ci_u32_e64 v5, s1, 0, v1, s1
	v_add_co_u32 v8, s1, 0x5800, v0
	v_lshlrev_b64 v[6:7], 4, v[6:7]
	v_add_co_ci_u32_e64 v9, s1, 0, v1, s1
	v_add_co_u32 v10, s1, 0x6000, v0
	v_add_co_ci_u32_e64 v11, s1, 0, v1, s1
	v_add_co_u32 v6, s1, v14, v6
	;; [unrolled: 2-line block ×4, first 2 shown]
	v_add_co_ci_u32_e64 v1, s1, 0, v1, s1
	s_clause 0x6
	global_load_dwordx4 v[54:57], v[2:3], off offset:768
	global_load_dwordx4 v[46:49], v[4:5], off offset:640
	global_load_dwordx4 v[42:45], v[8:9], off offset:512
	global_load_dwordx4 v[38:41], v[10:11], off offset:384
	global_load_dwordx4 v[34:37], v[12:13], off offset:256
	global_load_dwordx4 v[26:29], v[0:1], off offset:128
	global_load_dwordx4 v[12:15], v[6:7], off
.LBB0_11:
	s_or_b32 exec_lo, exec_lo, s4
	s_waitcnt vmcnt(0)
	v_add_f64 v[6:7], v[60:61], -v[14:15]
	s_mov_b32 s26, 0x2a9d6da3
	s_mov_b32 s22, 0xeb564b22
	;; [unrolled: 1-line block ×10, first 2 shown]
	v_add_f64 v[16:17], v[58:59], v[12:13]
	v_add_f64 v[20:21], v[64:65], -v[28:29]
	s_mov_b32 s4, 0x75d4884
	s_mov_b32 s6, 0x3259b75e
	;; [unrolled: 1-line block ×9, first 2 shown]
	v_mul_f64 v[86:87], v[6:7], s[26:27]
	v_mul_f64 v[88:89], v[6:7], s[24:25]
	;; [unrolled: 1-line block ×5, first 2 shown]
	s_mov_b32 s7, 0x3fb79ee6
	s_mov_b32 s13, 0x3fdc86fa
	;; [unrolled: 1-line block ×7, first 2 shown]
	v_add_f64 v[18:19], v[62:63], v[26:27]
	v_add_f64 v[146:147], v[68:69], -v[36:37]
	v_mul_f64 v[152:153], v[20:21], s[22:23]
	v_mul_f64 v[158:159], v[20:21], s[30:31]
	;; [unrolled: 1-line block ×5, first 2 shown]
	s_mov_b32 s10, 0x6ed5f1bb
	s_mov_b32 s14, 0x7faef3
	;; [unrolled: 1-line block ×3, first 2 shown]
	v_fma_f64 v[0:1], v[16:17], s[4:5], -v[86:87]
	v_fma_f64 v[2:3], v[16:17], s[12:13], -v[88:89]
	;; [unrolled: 1-line block ×5, first 2 shown]
	s_mov_b32 s11, 0xbfe348c8
	s_mov_b32 s55, 0x3fc7851a
	;; [unrolled: 1-line block ×9, first 2 shown]
	v_add_f64 v[100:101], v[34:35], v[66:67]
	v_add_f64 v[184:185], v[84:85], -v[40:41]
	v_mul_f64 v[162:163], v[146:147], s[30:31]
	v_mul_f64 v[168:169], v[146:147], s[54:55]
	v_fma_f64 v[92:93], v[18:19], s[6:7], -v[152:153]
	v_fma_f64 v[94:95], v[18:19], s[10:11], -v[158:159]
	;; [unrolled: 1-line block ×4, first 2 shown]
	v_add_f64 v[0:1], v[0:1], v[22:23]
	v_add_f64 v[2:3], v[2:3], v[22:23]
	;; [unrolled: 1-line block ×4, first 2 shown]
	v_mul_f64 v[180:181], v[146:147], s[42:43]
	v_mul_f64 v[186:187], v[146:147], s[38:39]
	v_fma_f64 v[106:107], v[18:19], s[4:5], -v[150:151]
	v_mul_f64 v[164:165], v[146:147], s[24:25]
	v_add_f64 v[10:11], v[10:11], v[22:23]
	s_mov_b32 s41, 0x3fd71e95
	s_mov_b32 s40, s34
	v_add_f64 v[178:179], v[38:39], v[82:83]
	v_add_f64 v[98:99], v[80:81], -v[44:45]
	v_add_f64 v[156:157], v[78:79], v[42:43]
	s_mov_b32 s45, 0xbfe0d888
	v_mul_f64 v[176:177], v[184:185], s[36:37]
	v_mul_f64 v[182:183], v[184:185], s[42:43]
	;; [unrolled: 1-line block ×5, first 2 shown]
	v_fma_f64 v[108:109], v[100:101], s[10:11], -v[162:163]
	v_fma_f64 v[114:115], v[100:101], s[14:15], -v[168:169]
	v_add_f64 v[0:1], v[92:93], v[0:1]
	v_add_f64 v[2:3], v[94:95], v[2:3]
	;; [unrolled: 1-line block ×4, first 2 shown]
	v_fma_f64 v[92:93], v[100:101], s[20:21], -v[180:181]
	v_fma_f64 v[94:95], v[100:101], s[4:5], -v[186:187]
	v_add_f64 v[96:97], v[76:77], -v[48:49]
	v_fma_f64 v[104:105], v[100:101], s[12:13], -v[164:165]
	v_add_f64 v[10:11], v[106:107], v[10:11]
	s_mov_b32 s53, 0x3fefdd0d
	s_mov_b32 s44, s46
	;; [unrolled: 1-line block ×3, first 2 shown]
	v_mul_f64 v[106:107], v[98:99], s[46:47]
	v_mul_f64 v[116:117], v[98:99], s[38:39]
	;; [unrolled: 1-line block ×5, first 2 shown]
	v_fma_f64 v[118:119], v[178:179], s[14:15], -v[176:177]
	v_fma_f64 v[120:121], v[178:179], s[20:21], -v[182:183]
	;; [unrolled: 1-line block ×5, first 2 shown]
	v_add_f64 v[0:1], v[108:109], v[0:1]
	v_add_f64 v[2:3], v[114:115], v[2:3]
	;; [unrolled: 1-line block ×3, first 2 shown]
	s_mov_b32 s49, 0x3feca52d
	v_add_f64 v[4:5], v[92:93], v[4:5]
	v_add_f64 v[8:9], v[94:95], v[8:9]
	v_add_f64 v[92:93], v[72:73], -v[56:57]
	v_mul_f64 v[114:115], v[96:97], s[42:43]
	v_add_f64 v[10:11], v[104:105], v[10:11]
	v_mul_f64 v[122:123], v[96:97], s[34:35]
	v_mul_f64 v[134:135], v[96:97], s[44:45]
	;; [unrolled: 1-line block ×4, first 2 shown]
	v_fma_f64 v[104:105], v[156:157], s[18:19], -v[106:107]
	v_fma_f64 v[108:109], v[156:157], s[4:5], -v[116:117]
	;; [unrolled: 1-line block ×5, first 2 shown]
	s_mov_b32 s51, 0x3fe9895b
	s_mov_b32 s48, s24
	;; [unrolled: 1-line block ×3, first 2 shown]
	v_add_f64 v[174:175], v[54:55], v[70:71]
	v_add_f64 v[0:1], v[118:119], v[0:1]
	v_add_f64 v[2:3], v[120:121], v[2:3]
	v_add_f64 v[94:95], v[52:53], -v[32:33]
	v_add_f64 v[4:5], v[124:125], v[4:5]
	v_add_f64 v[8:9], v[128:129], v[8:9]
	v_mul_f64 v[118:119], v[92:93], s[48:49]
	v_mul_f64 v[128:129], v[92:93], s[22:23]
	v_add_f64 v[10:11], v[130:131], v[10:11]
	v_mul_f64 v[140:141], v[92:93], s[50:51]
	v_mul_f64 v[148:149], v[92:93], s[34:35]
	;; [unrolled: 1-line block ×3, first 2 shown]
	v_fma_f64 v[198:199], v[160:161], s[20:21], -v[114:115]
	v_fma_f64 v[200:201], v[160:161], s[16:17], -v[122:123]
	;; [unrolled: 1-line block ×5, first 2 shown]
	v_add_f64 v[0:1], v[104:105], v[0:1]
	v_add_f64 v[2:3], v[108:109], v[2:3]
	v_mul_f64 v[104:105], v[94:95], s[40:41]
	v_mul_f64 v[108:109], v[94:95], s[44:45]
	v_add_f64 v[4:5], v[188:189], v[4:5]
	v_add_f64 v[8:9], v[194:195], v[8:9]
	;; [unrolled: 1-line block ×3, first 2 shown]
	v_mul_f64 v[120:121], v[94:95], s[38:39]
	v_add_f64 v[10:11], v[196:197], v[10:11]
	v_mul_f64 v[130:131], v[94:95], s[30:31]
	v_mul_f64 v[124:125], v[94:95], s[36:37]
	v_fma_f64 v[194:195], v[174:175], s[12:13], -v[118:119]
	v_fma_f64 v[196:197], v[174:175], s[6:7], -v[128:129]
	;; [unrolled: 1-line block ×5, first 2 shown]
	v_add_f64 v[0:1], v[198:199], v[0:1]
	v_add_f64 v[2:3], v[200:201], v[2:3]
	;; [unrolled: 1-line block ×4, first 2 shown]
	v_fma_f64 v[198:199], v[188:189], s[16:17], -v[104:105]
	v_fma_f64 v[200:201], v[188:189], s[18:19], -v[108:109]
	v_add_f64 v[10:11], v[206:207], v[10:11]
	v_fma_f64 v[202:203], v[188:189], s[4:5], -v[120:121]
	v_fma_f64 v[204:205], v[188:189], s[10:11], -v[130:131]
	;; [unrolled: 1-line block ×3, first 2 shown]
	v_add_f64 v[0:1], v[194:195], v[0:1]
	v_add_f64 v[194:195], v[196:197], v[2:3]
	;; [unrolled: 1-line block ×10, first 2 shown]
	s_and_saveexec_b32 s1, s0
	s_cbranch_execz .LBB0_13
; %bb.12:
	v_add_f64 v[194:195], v[58:59], v[22:23]
	v_mul_f64 v[196:197], v[178:179], s[4:5]
	v_mul_f64 v[198:199], v[100:101], s[18:19]
	;; [unrolled: 1-line block ×19, first 2 shown]
	v_add_f64 v[194:195], v[62:63], v[194:195]
	v_fma_f64 v[234:235], v[184:185], s[26:27], v[196:197]
	v_fma_f64 v[236:237], v[146:147], s[46:47], v[198:199]
	;; [unrolled: 1-line block ×21, first 2 shown]
	v_add_f64 v[194:195], v[66:67], v[194:195]
	v_fma_f64 v[20:21], v[20:21], s[42:43], v[230:231]
	v_fma_f64 v[230:231], v[6:7], s[50:51], v[232:233]
	;; [unrolled: 1-line block ×3, first 2 shown]
	v_mul_f64 v[232:233], v[16:17], s[6:7]
	v_add_f64 v[102:103], v[102:103], v[204:205]
	v_mul_f64 v[204:205], v[16:17], s[12:13]
	v_add_f64 v[180:181], v[180:181], v[218:219]
	v_mul_f64 v[218:219], v[16:17], s[4:5]
	v_mul_f64 v[16:17], v[16:17], s[16:17]
	v_add_f64 v[172:173], v[172:173], v[216:217]
	v_mul_f64 v[216:217], v[18:19], s[10:11]
	v_add_f64 v[186:187], v[186:187], v[220:221]
	;; [unrolled: 2-line block ×4, first 2 shown]
	v_add_f64 v[202:203], v[202:203], v[22:23]
	v_add_f64 v[248:249], v[248:249], v[22:23]
	v_mul_f64 v[100:101], v[100:101], s[12:13]
	v_add_f64 v[192:193], v[192:193], v[226:227]
	v_mul_f64 v[226:227], v[178:179], s[20:21]
	v_add_f64 v[194:195], v[82:83], v[194:195]
	v_add_f64 v[190:191], v[190:191], v[222:223]
	;; [unrolled: 1-line block ×5, first 2 shown]
	v_mul_f64 v[232:233], v[18:19], s[4:5]
	v_mul_f64 v[18:19], v[18:19], s[6:7]
	v_add_f64 v[88:89], v[88:89], v[204:205]
	v_add_f64 v[86:87], v[86:87], v[218:219]
	;; [unrolled: 1-line block ×5, first 2 shown]
	v_mul_f64 v[222:223], v[178:179], s[14:15]
	v_add_f64 v[168:169], v[168:169], v[220:221]
	v_mul_f64 v[178:179], v[178:179], s[6:7]
	v_add_f64 v[162:163], v[162:163], v[206:207]
	;; [unrolled: 2-line block ×5, first 2 shown]
	v_add_f64 v[194:195], v[78:79], v[194:195]
	v_mul_f64 v[226:227], v[156:157], s[20:21]
	v_add_f64 v[228:229], v[228:229], v[230:231]
	v_add_f64 v[6:7], v[20:21], v[6:7]
	;; [unrolled: 1-line block ×13, first 2 shown]
	v_mul_f64 v[222:223], v[156:157], s[14:15]
	v_add_f64 v[170:171], v[170:171], v[178:179]
	v_add_f64 v[198:199], v[198:199], v[200:201]
	v_mul_f64 v[200:201], v[156:157], s[16:17]
	v_mul_f64 v[154:155], v[160:161], s[20:21]
	;; [unrolled: 1-line block ×3, first 2 shown]
	v_add_f64 v[116:117], v[116:117], v[216:217]
	v_add_f64 v[194:195], v[74:75], v[194:195]
	;; [unrolled: 1-line block ×6, first 2 shown]
	v_mul_f64 v[214:215], v[160:161], s[18:19]
	v_mul_f64 v[178:179], v[160:161], s[6:7]
	v_add_f64 v[88:89], v[158:159], v[88:89]
	v_add_f64 v[18:19], v[18:19], v[86:87]
	;; [unrolled: 1-line block ×5, first 2 shown]
	v_mul_f64 v[150:151], v[156:157], s[10:11]
	v_add_f64 v[240:241], v[244:245], v[240:241]
	v_mul_f64 v[156:157], v[156:157], s[6:7]
	v_add_f64 v[22:23], v[236:237], v[22:23]
	v_add_f64 v[136:137], v[136:137], v[222:223]
	;; [unrolled: 1-line block ×3, first 2 shown]
	v_mul_f64 v[218:219], v[160:161], s[10:11]
	v_mul_f64 v[86:87], v[160:161], s[12:13]
	;; [unrolled: 1-line block ×4, first 2 shown]
	v_add_f64 v[194:195], v[70:71], v[194:195]
	v_add_f64 v[132:133], v[132:133], v[226:227]
	v_mul_f64 v[232:233], v[174:175], s[12:13]
	v_add_f64 v[6:7], v[184:185], v[6:7]
	v_add_f64 v[90:91], v[180:181], v[90:91]
	v_mul_f64 v[238:239], v[174:175], s[6:7]
	v_add_f64 v[122:123], v[122:123], v[206:207]
	v_add_f64 v[88:89], v[168:169], v[88:89]
	;; [unrolled: 1-line block ×6, first 2 shown]
	v_fma_f64 v[180:181], v[98:99], s[50:51], v[150:151]
	v_fma_f64 v[150:151], v[98:99], s[30:31], v[150:151]
	;; [unrolled: 1-line block ×3, first 2 shown]
	v_add_f64 v[22:23], v[234:235], v[22:23]
	v_add_f64 v[114:115], v[114:115], v[154:155]
	v_mul_f64 v[202:203], v[174:175], s[10:11]
	v_mul_f64 v[246:247], v[174:175], s[16:17]
	v_add_f64 v[142:143], v[142:143], v[178:179]
	v_add_f64 v[134:135], v[134:135], v[214:215]
	v_mul_f64 v[164:165], v[174:175], s[18:19]
	v_add_f64 v[194:195], v[50:51], v[194:195]
	v_mul_f64 v[158:159], v[174:175], s[20:21]
	v_mul_f64 v[210:211], v[174:175], s[4:5]
	;; [unrolled: 1-line block ×3, first 2 shown]
	v_add_f64 v[90:91], v[190:191], v[90:91]
	v_fma_f64 v[162:163], v[96:97], s[24:25], v[86:87]
	v_fma_f64 v[86:87], v[96:97], s[48:49], v[86:87]
	v_add_f64 v[88:89], v[182:183], v[88:89]
	v_add_f64 v[18:19], v[176:177], v[18:19]
	;; [unrolled: 1-line block ×6, first 2 shown]
	v_fma_f64 v[170:171], v[96:97], s[54:55], v[146:147]
	v_fma_f64 v[146:147], v[96:97], s[36:37], v[146:147]
	;; [unrolled: 1-line block ×4, first 2 shown]
	v_add_f64 v[22:23], v[180:181], v[22:23]
	v_add_f64 v[138:139], v[138:139], v[218:219]
	v_mul_f64 v[230:231], v[188:189], s[16:17]
	v_mul_f64 v[20:21], v[188:189], s[18:19]
	v_add_f64 v[128:129], v[128:129], v[238:239]
	v_add_f64 v[194:195], v[30:31], v[194:195]
	;; [unrolled: 1-line block ×3, first 2 shown]
	v_mul_f64 v[172:173], v[188:189], s[4:5]
	v_mul_f64 v[236:237], v[188:189], s[10:11]
	v_add_f64 v[90:91], v[126:127], v[90:91]
	v_add_f64 v[136:137], v[148:149], v[246:247]
	;; [unrolled: 1-line block ×5, first 2 shown]
	v_mul_f64 v[212:213], v[188:189], s[14:15]
	v_mul_f64 v[166:167], v[188:189], s[6:7]
	v_add_f64 v[16:17], v[132:133], v[16:17]
	v_add_f64 v[102:103], v[142:143], v[102:103]
	v_mul_f64 v[244:245], v[188:189], s[20:21]
	v_mul_f64 v[188:189], v[188:189], s[12:13]
	v_fma_f64 v[168:169], v[92:93], s[42:43], v[158:159]
	v_fma_f64 v[106:107], v[92:93], s[28:29], v[158:159]
	;; [unrolled: 1-line block ×6, first 2 shown]
	v_add_f64 v[22:23], v[162:163], v[22:23]
	v_add_f64 v[194:195], v[54:55], v[194:195]
	;; [unrolled: 1-line block ×11, first 2 shown]
	v_fma_f64 v[186:187], v[94:95], s[22:23], v[166:167]
	v_add_f64 v[16:17], v[138:139], v[16:17]
	v_add_f64 v[102:103], v[136:137], v[102:103]
	v_fma_f64 v[114:115], v[94:95], s[42:43], v[244:245]
	v_fma_f64 v[122:123], v[94:95], s[28:29], v[244:245]
	;; [unrolled: 1-line block ×3, first 2 shown]
	v_add_f64 v[22:23], v[168:169], v[22:23]
	v_add_f64 v[100:101], v[46:47], v[194:195]
	v_fma_f64 v[194:195], v[98:99], s[40:41], v[200:201]
	v_fma_f64 v[200:201], v[98:99], s[34:35], v[200:201]
	v_fma_f64 v[98:99], v[98:99], s[52:53], v[156:157]
	v_add_f64 v[156:157], v[196:197], v[198:199]
	v_add_f64 v[196:197], v[242:243], v[240:241]
	;; [unrolled: 1-line block ×25, first 2 shown]
	v_fma_f64 v[100:101], v[94:95], s[52:53], v[166:167]
	v_fma_f64 v[94:95], v[94:95], s[48:49], v[188:189]
	v_add_f64 v[6:7], v[92:93], v[6:7]
	v_add_f64 v[86:87], v[106:107], v[86:87]
	;; [unrolled: 1-line block ×11, first 2 shown]
	v_mad_u32_u24 v94, 0x88, v110, 0
	v_add_f64 v[92:93], v[12:13], v[96:97]
	ds_write2_b64 v94, v[8:9], v[10:11] offset0:12 offset1:13
	ds_write2_b64 v94, v[0:1], v[2:3] offset0:14 offset1:15
	;; [unrolled: 1-line block ×7, first 2 shown]
	ds_write2_b64 v94, v[92:93], v[16:17] offset1:1
	ds_write_b64 v94, v[4:5] offset:128
.LBB0_13:
	s_or_b32 exec_lo, exec_lo, s1
	v_add_f64 v[124:125], v[58:59], -v[12:13]
	v_add_f64 v[6:7], v[62:63], -v[26:27]
	v_add_f64 v[126:127], v[60:61], v[14:15]
	v_add_f64 v[26:27], v[66:67], -v[34:35]
	v_add_f64 v[58:59], v[64:65], v[28:29]
	v_add_f64 v[34:35], v[36:37], v[68:69]
	v_add_f64 v[38:39], v[82:83], -v[38:39]
	v_add_f64 v[62:63], v[40:41], v[84:85]
	v_add_f64 v[42:43], v[78:79], -v[42:43]
	v_add_f64 v[46:47], v[74:75], -v[46:47]
	v_add_f64 v[74:75], v[76:77], v[48:49]
	v_add_f64 v[54:55], v[70:71], -v[54:55]
	v_add_f64 v[70:71], v[56:57], v[72:73]
	;; [unrolled: 2-line block ×3, first 2 shown]
	v_lshl_add_u32 v111, v110, 3, 0
	s_waitcnt lgkmcnt(0)
	s_barrier
	buffer_gl0_inv
	v_add_nc_u32_e32 v194, 0x800, v111
	v_add_nc_u32_e32 v196, 0x2800, v111
	v_mul_f64 v[144:145], v[124:125], s[34:35]
	v_mul_f64 v[142:143], v[124:125], s[26:27]
	;; [unrolled: 1-line block ×22, first 2 shown]
	v_fma_f64 v[12:13], v[126:127], s[16:17], v[144:145]
	v_fma_f64 v[16:17], v[126:127], s[4:5], v[142:143]
	v_fma_f64 v[18:19], v[126:127], s[12:13], v[140:141]
	v_fma_f64 v[20:21], v[126:127], s[6:7], v[138:139]
	v_fma_f64 v[22:23], v[126:127], s[20:21], v[136:137]
	v_fma_f64 v[66:67], v[58:59], s[4:5], v[122:123]
	v_fma_f64 v[86:87], v[58:59], s[6:7], v[120:121]
	v_fma_f64 v[88:89], v[58:59], s[10:11], v[118:119]
	v_fma_f64 v[90:91], v[58:59], s[14:15], v[116:117]
	v_fma_f64 v[92:93], v[58:59], s[18:19], v[114:115]
	v_fma_f64 v[94:95], v[34:35], s[12:13], v[134:135]
	v_fma_f64 v[96:97], v[34:35], s[10:11], v[132:133]
	v_fma_f64 v[98:99], v[34:35], s[14:15], v[130:131]
	v_fma_f64 v[100:101], v[34:35], s[20:21], v[128:129]
	v_fma_f64 v[102:103], v[34:35], s[4:5], v[82:83]
	v_mul_f64 v[158:159], v[42:43], s[38:39]
	v_mul_f64 v[156:157], v[42:43], s[24:25]
	;; [unrolled: 1-line block ×4, first 2 shown]
	v_fma_f64 v[104:105], v[62:63], s[12:13], v[78:79]
	v_mul_f64 v[170:171], v[46:47], s[42:43]
	v_mul_f64 v[168:169], v[46:47], s[34:35]
	v_add_f64 v[12:13], v[12:13], v[24:25]
	v_add_f64 v[16:17], v[16:17], v[24:25]
	;; [unrolled: 1-line block ×5, first 2 shown]
	v_mul_f64 v[166:167], v[46:47], s[44:45]
	v_mul_f64 v[164:165], v[46:47], s[52:53]
	;; [unrolled: 1-line block ×12, first 2 shown]
	v_add_nc_u32_e32 v195, 0x1e00, v111
	v_add_nc_u32_e32 v198, 0x1400, v111
	;; [unrolled: 1-line block ×3, first 2 shown]
	v_add_f64 v[12:13], v[66:67], v[12:13]
	v_add_f64 v[16:17], v[86:87], v[16:17]
	;; [unrolled: 1-line block ×6, first 2 shown]
	v_fma_f64 v[86:87], v[62:63], s[6:7], v[152:153]
	v_fma_f64 v[88:89], v[62:63], s[14:15], v[150:151]
	v_fma_f64 v[90:91], v[62:63], s[20:21], v[148:149]
	v_fma_f64 v[92:93], v[62:63], s[16:17], v[146:147]
	v_fma_f64 v[106:107], v[50:51], s[16:17], v[186:187]
	v_fma_f64 v[108:109], v[50:51], s[18:19], v[188:189]
	v_fma_f64 v[199:200], v[50:51], s[4:5], v[190:191]
	v_fma_f64 v[201:202], v[50:51], s[10:11], v[192:193]
	v_add_f64 v[12:13], v[94:95], v[12:13]
	v_add_f64 v[16:17], v[96:97], v[16:17]
	v_add_f64 v[18:19], v[98:99], v[18:19]
	v_add_f64 v[20:21], v[100:101], v[20:21]
	v_add_f64 v[22:23], v[102:103], v[22:23]
	v_fma_f64 v[94:95], v[66:67], s[20:21], v[162:163]
	v_fma_f64 v[96:97], v[66:67], s[18:19], v[160:161]
	v_fma_f64 v[98:99], v[66:67], s[4:5], v[158:159]
	v_fma_f64 v[100:101], v[66:67], s[12:13], v[156:157]
	v_fma_f64 v[102:103], v[66:67], s[14:15], v[154:155]
	v_add_f64 v[12:13], v[86:87], v[12:13]
	v_add_f64 v[16:17], v[88:89], v[16:17]
	v_add_f64 v[18:19], v[90:91], v[18:19]
	v_add_f64 v[20:21], v[92:93], v[20:21]
	v_add_f64 v[22:23], v[104:105], v[22:23]
	v_fma_f64 v[86:87], v[74:75], s[10:11], v[172:173]
	v_fma_f64 v[88:89], v[74:75], s[20:21], v[170:171]
	v_fma_f64 v[90:91], v[74:75], s[16:17], v[168:169]
	v_fma_f64 v[92:93], v[74:75], s[18:19], v[166:167]
	v_fma_f64 v[104:105], v[74:75], s[6:7], v[164:165]
	;; [unrolled: 10-line block ×3, first 2 shown]
	v_add_f64 v[12:13], v[86:87], v[12:13]
	v_add_f64 v[16:17], v[88:89], v[16:17]
	;; [unrolled: 1-line block ×5, first 2 shown]
	v_fma_f64 v[104:105], v[50:51], s[14:15], v[184:185]
	ds_read2_b64 v[86:89], v111 offset1:170
	v_add_f64 v[12:13], v[94:95], v[12:13]
	v_add_f64 v[16:17], v[96:97], v[16:17]
	;; [unrolled: 1-line block ×5, first 2 shown]
	ds_read2_b64 v[90:93], v194 offset0:84 offset1:254
	ds_read2_b64 v[94:97], v195 offset0:60 offset1:230
	v_add_f64 v[12:13], v[104:105], v[12:13]
	v_add_f64 v[18:19], v[106:107], v[16:17]
	v_add_f64 v[16:17], v[108:109], v[98:99]
	v_add_f64 v[22:23], v[199:200], v[20:21]
	v_add_f64 v[20:21], v[201:202], v[100:101]
	ds_read2_b64 v[98:101], v196 offset0:80 offset1:250
	ds_read2_b64 v[106:109], v198 offset0:40 offset1:210
	;; [unrolled: 1-line block ×3, first 2 shown]
	s_waitcnt lgkmcnt(0)
	s_barrier
	buffer_gl0_inv
	s_and_saveexec_b32 s33, s0
	s_cbranch_execz .LBB0_15
; %bb.14:
	v_add_f64 v[60:61], v[60:61], v[24:25]
	s_mov_b32 s24, 0x6c9a05f6
	s_mov_b32 s28, 0x4363dd80
	;; [unrolled: 1-line block ×16, first 2 shown]
	v_add_f64 v[60:61], v[64:65], v[60:61]
	v_mul_f64 v[64:65], v[124:125], s[0:1]
	v_add_f64 v[60:61], v[68:69], v[60:61]
	v_add_f64 v[60:61], v[84:85], v[60:61]
	v_mul_f64 v[84:85], v[58:59], s[14:15]
	v_add_f64 v[60:61], v[80:81], v[60:61]
	v_add_f64 v[84:85], v[84:85], -v[116:117]
	v_mul_f64 v[116:117], v[58:59], s[18:19]
	v_mul_f64 v[80:81], v[58:59], s[10:11]
	v_add_f64 v[60:61], v[76:77], v[60:61]
	v_fma_f64 v[76:77], v[126:127], s[22:23], -v[64:65]
	v_fma_f64 v[64:65], v[126:127], s[22:23], v[64:65]
	v_add_f64 v[114:115], v[116:117], -v[114:115]
	v_mul_f64 v[116:117], v[34:35], s[12:13]
	v_add_f64 v[80:81], v[80:81], -v[118:119]
	v_mul_f64 v[118:119], v[34:35], s[10:11]
	v_add_f64 v[60:61], v[72:73], v[60:61]
	v_add_f64 v[76:77], v[76:77], v[24:25]
	v_add_f64 v[116:117], v[116:117], -v[134:135]
	v_mul_f64 v[134:135], v[66:67], s[18:19]
	v_add_f64 v[118:119], v[118:119], -v[132:133]
	v_mul_f64 v[132:133], v[62:63], s[12:13]
	v_add_f64 v[52:53], v[52:53], v[60:61]
	v_mul_f64 v[60:61], v[124:125], s[28:29]
	v_add_f64 v[134:135], v[134:135], -v[160:161]
	v_mul_f64 v[160:161], v[70:71], s[16:17]
	v_add_f64 v[78:79], v[132:133], -v[78:79]
	v_mul_f64 v[132:133], v[66:67], s[20:21]
	v_add_f64 v[32:33], v[32:33], v[52:53]
	v_mul_f64 v[52:53], v[126:127], s[20:21]
	v_fma_f64 v[72:73], v[126:127], s[30:31], -v[60:61]
	v_fma_f64 v[60:61], v[126:127], s[30:31], v[60:61]
	v_add_f64 v[160:161], v[160:161], -v[174:175]
	v_add_f64 v[132:133], v[132:133], -v[162:163]
	v_mul_f64 v[162:163], v[50:51], s[14:15]
	v_add_f64 v[32:33], v[56:57], v[32:33]
	v_mul_f64 v[56:57], v[124:125], s[24:25]
	v_add_f64 v[52:53], v[52:53], -v[136:137]
	v_add_f64 v[72:73], v[72:73], v[24:25]
	v_add_f64 v[60:61], v[60:61], v[24:25]
	v_mul_f64 v[124:125], v[34:35], s[4:5]
	v_mul_f64 v[136:137], v[66:67], s[4:5]
	v_add_f64 v[162:163], v[162:163], -v[184:185]
	v_add_f64 v[32:33], v[48:49], v[32:33]
	v_mul_f64 v[48:49], v[126:127], s[6:7]
	v_fma_f64 v[68:69], v[126:127], s[26:27], -v[56:57]
	v_fma_f64 v[56:57], v[126:127], s[26:27], v[56:57]
	v_add_f64 v[52:53], v[52:53], v[24:25]
	v_add_f64 v[82:83], v[124:125], -v[82:83]
	v_mul_f64 v[124:125], v[62:63], s[6:7]
	v_add_f64 v[136:137], v[136:137], -v[158:159]
	v_mul_f64 v[158:159], v[70:71], s[10:11]
	v_add_f64 v[32:33], v[44:45], v[32:33]
	v_mul_f64 v[44:45], v[126:127], s[12:13]
	v_add_f64 v[48:49], v[48:49], -v[138:139]
	v_add_f64 v[68:69], v[68:69], v[24:25]
	v_add_f64 v[56:57], v[56:57], v[24:25]
	v_mul_f64 v[138:139], v[66:67], s[12:13]
	v_add_f64 v[124:125], v[124:125], -v[152:153]
	v_mul_f64 v[152:153], v[70:71], s[18:19]
	v_add_f64 v[158:159], v[158:159], -v[176:177]
	v_add_f64 v[32:33], v[40:41], v[32:33]
	v_mul_f64 v[40:41], v[126:127], s[4:5]
	v_add_f64 v[44:45], v[44:45], -v[140:141]
	v_add_f64 v[48:49], v[48:49], v[24:25]
	v_mul_f64 v[140:141], v[66:67], s[14:15]
	v_add_f64 v[138:139], v[138:139], -v[156:157]
	v_mul_f64 v[156:157], v[70:71], s[6:7]
	v_add_f64 v[152:153], v[152:153], -v[182:183]
	v_mul_f64 v[182:183], v[26:27], s[28:29]
	v_add_f64 v[32:33], v[36:37], v[32:33]
	v_mul_f64 v[36:37], v[126:127], s[16:17]
	v_add_f64 v[40:41], v[40:41], -v[142:143]
	v_add_f64 v[44:45], v[44:45], v[24:25]
	v_mul_f64 v[126:127], v[62:63], s[14:15]
	v_mul_f64 v[142:143], v[74:75], s[10:11]
	v_add_f64 v[140:141], v[140:141], -v[154:155]
	v_mul_f64 v[154:155], v[70:71], s[12:13]
	v_add_f64 v[156:157], v[156:157], -v[178:179]
	v_add_f64 v[28:29], v[28:29], v[32:33]
	v_add_f64 v[36:37], v[36:37], -v[144:145]
	v_add_f64 v[40:41], v[40:41], v[24:25]
	v_mul_f64 v[32:33], v[58:59], s[4:5]
	v_mul_f64 v[144:145], v[74:75], s[20:21]
	v_add_f64 v[126:127], v[126:127], -v[150:151]
	v_mul_f64 v[150:151], v[74:75], s[6:7]
	v_add_f64 v[142:143], v[142:143], -v[172:173]
	v_add_f64 v[154:155], v[154:155], -v[180:181]
	v_add_f64 v[14:15], v[14:15], v[28:29]
	v_add_f64 v[36:37], v[36:37], v[24:25]
	;; [unrolled: 1-line block ×3, first 2 shown]
	v_mul_f64 v[64:65], v[58:59], s[6:7]
	v_add_f64 v[32:33], v[32:33], -v[122:123]
	v_mul_f64 v[122:123], v[34:35], s[20:21]
	v_add_f64 v[144:145], v[144:145], -v[170:171]
	v_mul_f64 v[170:171], v[50:51], s[10:11]
	s_mov_b32 s10, 0x7c9e640b
	s_mov_b32 s11, 0x3feca52d
	s_mov_b32 s6, 0xc61f0d01
	v_add_f64 v[150:151], v[150:151], -v[164:165]
	v_mul_f64 v[164:165], v[50:51], s[16:17]
	s_mov_b32 s7, 0xbfd183b1
	v_lshl_add_u32 v28, v110, 7, v111
	v_add_f64 v[64:65], v[64:65], -v[120:121]
	v_mul_f64 v[120:121], v[34:35], s[14:15]
	v_add_f64 v[122:123], v[122:123], -v[128:129]
	v_mul_f64 v[128:129], v[62:63], s[20:21]
	s_mov_b32 s20, 0x370991
	s_mov_b32 s21, 0x3fedd6d0
	;; [unrolled: 1-line block ×4, first 2 shown]
	v_add_f64 v[32:33], v[32:33], v[36:37]
	v_add_f64 v[164:165], v[164:165], -v[186:187]
	v_fma_f64 v[186:187], v[34:35], s[30:31], -v[182:183]
	v_fma_f64 v[182:183], v[34:35], s[30:31], v[182:183]
	v_add_f64 v[36:37], v[80:81], v[44:45]
	v_add_f64 v[44:45], v[114:115], v[52:53]
	v_add_f64 v[170:171], v[170:171], -v[192:193]
	v_add_f64 v[120:121], v[120:121], -v[130:131]
	v_mul_f64 v[130:131], v[62:63], s[16:17]
	v_add_f64 v[128:129], v[128:129], -v[148:149]
	v_mul_f64 v[148:149], v[74:75], s[18:19]
	v_add_f64 v[32:33], v[116:117], v[32:33]
	v_add_f64 v[44:45], v[82:83], v[44:45]
	;; [unrolled: 1-line block ×3, first 2 shown]
	v_add_f64 v[130:131], v[130:131], -v[146:147]
	v_mul_f64 v[146:147], v[74:75], s[16:17]
	v_add_f64 v[148:149], v[148:149], -v[166:167]
	v_mul_f64 v[166:167], v[50:51], s[18:19]
	s_mov_b32 s19, 0x3fd71e95
	s_mov_b32 s18, 0x5d8e7cdc
	;; [unrolled: 1-line block ×3, first 2 shown]
	v_mul_f64 v[174:175], v[6:7], s[18:19]
	s_mov_b32 s16, 0xeb564b22
	s_mov_b32 s19, 0xbfd71e95
	v_add_f64 v[32:33], v[124:125], v[32:33]
	v_add_f64 v[44:45], v[78:79], v[44:45]
	v_add_f64 v[36:37], v[128:129], v[36:37]
	v_add_f64 v[146:147], v[146:147], -v[168:169]
	v_mul_f64 v[168:169], v[50:51], s[4:5]
	s_mov_b32 s5, 0x3feec746
	s_mov_b32 s4, 0x923c349f
	v_add_f64 v[166:167], v[166:167], -v[188:189]
	v_mul_f64 v[172:173], v[6:7], s[4:5]
	v_mul_f64 v[6:7], v[6:7], s[10:11]
	v_fma_f64 v[178:179], v[58:59], s[20:21], -v[174:175]
	v_fma_f64 v[174:175], v[58:59], s[20:21], v[174:175]
	s_mov_b32 s5, 0xbfeec746
	v_add_f64 v[44:45], v[140:141], v[44:45]
	v_add_f64 v[32:33], v[132:133], v[32:33]
	;; [unrolled: 1-line block ×3, first 2 shown]
	v_add_f64 v[168:169], v[168:169], -v[190:191]
	v_fma_f64 v[176:177], v[58:59], s[6:7], -v[172:173]
	v_fma_f64 v[172:173], v[58:59], s[6:7], v[172:173]
	v_fma_f64 v[180:181], v[58:59], s[12:13], -v[6:7]
	v_fma_f64 v[6:7], v[58:59], s[12:13], v[6:7]
	v_mul_f64 v[58:59], v[26:27], s[16:17]
	v_mul_f64 v[26:27], v[26:27], s[18:19]
	v_add_f64 v[24:25], v[174:175], v[24:25]
	s_mov_b32 s17, 0x3fefdd0d
	v_add_f64 v[44:45], v[150:151], v[44:45]
	v_add_f64 v[32:33], v[142:143], v[32:33]
	;; [unrolled: 1-line block ×6, first 2 shown]
	v_fma_f64 v[184:185], v[34:35], s[14:15], -v[58:59]
	v_fma_f64 v[58:59], v[34:35], s[14:15], v[58:59]
	v_fma_f64 v[188:189], v[34:35], s[20:21], -v[26:27]
	v_fma_f64 v[26:27], v[34:35], s[20:21], v[26:27]
	v_add_f64 v[34:35], v[64:65], v[40:41]
	v_add_f64 v[40:41], v[84:85], v[48:49]
	;; [unrolled: 1-line block ×4, first 2 shown]
	v_mul_f64 v[60:61], v[38:39], s[28:29]
	v_mul_f64 v[68:69], v[38:39], s[36:37]
	;; [unrolled: 1-line block ×3, first 2 shown]
	s_mov_b32 s28, 0x75d4884
	s_mov_b32 s29, 0x3fe7a5f6
	v_add_f64 v[24:25], v[182:183], v[24:25]
	v_add_f64 v[36:37], v[156:157], v[36:37]
	;; [unrolled: 1-line block ×5, first 2 shown]
	v_mul_f64 v[58:59], v[42:43], s[24:25]
	v_add_f64 v[26:27], v[26:27], v[52:53]
	v_add_f64 v[34:35], v[118:119], v[34:35]
	;; [unrolled: 1-line block ×5, first 2 shown]
	v_fma_f64 v[72:73], v[62:63], s[30:31], -v[60:61]
	v_fma_f64 v[60:61], v[62:63], s[30:31], v[60:61]
	v_fma_f64 v[76:77], v[62:63], s[28:29], -v[68:69]
	v_fma_f64 v[68:69], v[62:63], s[28:29], v[68:69]
	;; [unrolled: 2-line block ×3, first 2 shown]
	v_add_f64 v[56:57], v[186:187], v[64:65]
	v_mul_f64 v[62:63], v[42:43], s[16:17]
	v_mul_f64 v[42:43], v[42:43], s[18:19]
	s_mov_b32 s19, 0xbfe58eea
	s_mov_b32 s18, s36
	v_add_f64 v[36:37], v[166:167], v[36:37]
	v_add_f64 v[44:45], v[170:171], v[44:45]
	v_add_f64 v[32:33], v[162:163], v[32:33]
	v_fma_f64 v[64:65], v[66:67], s[26:27], -v[58:59]
	v_fma_f64 v[58:59], v[66:67], s[26:27], v[58:59]
	v_add_f64 v[34:35], v[126:127], v[34:35]
	v_add_f64 v[40:41], v[130:131], v[40:41]
	;; [unrolled: 1-line block ×4, first 2 shown]
	v_mul_f64 v[60:61], v[46:47], s[10:11]
	v_add_f64 v[24:25], v[68:69], v[24:25]
	v_add_f64 v[52:53], v[80:81], v[52:53]
	;; [unrolled: 1-line block ×4, first 2 shown]
	v_fma_f64 v[82:83], v[66:67], s[14:15], -v[62:63]
	v_fma_f64 v[62:63], v[66:67], s[14:15], v[62:63]
	v_fma_f64 v[84:85], v[66:67], s[20:21], -v[42:43]
	v_fma_f64 v[42:43], v[66:67], s[20:21], v[42:43]
	v_mul_f64 v[38:39], v[46:47], s[0:1]
	v_mul_f64 v[46:47], v[46:47], s[18:19]
	v_add_f64 v[34:35], v[134:135], v[34:35]
	v_add_f64 v[40:41], v[138:139], v[40:41]
	v_fma_f64 v[68:69], v[74:75], s[12:13], -v[60:61]
	v_add_f64 v[24:25], v[58:59], v[24:25]
	v_mul_f64 v[58:59], v[54:55], s[36:37]
	v_fma_f64 v[60:61], v[74:75], s[12:13], v[60:61]
	v_add_f64 v[56:57], v[64:65], v[56:57]
	v_add_f64 v[48:49], v[82:83], v[48:49]
	;; [unrolled: 1-line block ×5, first 2 shown]
	v_fma_f64 v[66:67], v[74:75], s[22:23], -v[38:39]
	v_fma_f64 v[38:39], v[74:75], s[22:23], v[38:39]
	v_fma_f64 v[72:73], v[74:75], s[28:29], -v[46:47]
	v_fma_f64 v[46:47], v[74:75], s[28:29], v[46:47]
	v_mul_f64 v[42:43], v[54:55], s[0:1]
	v_mul_f64 v[54:55], v[54:55], s[4:5]
	v_add_f64 v[34:35], v[144:145], v[34:35]
	v_add_f64 v[40:41], v[148:149], v[40:41]
	v_fma_f64 v[64:65], v[70:71], s[28:29], -v[58:59]
	v_add_f64 v[24:25], v[60:61], v[24:25]
	v_fma_f64 v[58:59], v[70:71], s[28:29], v[58:59]
	v_add_f64 v[6:7], v[38:39], v[6:7]
	v_add_f64 v[48:49], v[72:73], v[48:49]
	v_add_f64 v[26:27], v[46:47], v[26:27]
	v_fma_f64 v[62:63], v[70:71], s[22:23], -v[42:43]
	v_fma_f64 v[42:43], v[70:71], s[22:23], v[42:43]
	v_add_f64 v[46:47], v[66:67], v[52:53]
	v_add_f64 v[52:53], v[68:69], v[56:57]
	v_mul_f64 v[38:39], v[30:31], s[10:11]
	v_mul_f64 v[56:57], v[30:31], s[4:5]
	v_fma_f64 v[74:75], v[70:71], s[6:7], -v[54:55]
	v_fma_f64 v[54:55], v[70:71], s[6:7], v[54:55]
	v_mul_f64 v[30:31], v[30:31], s[16:17]
	v_add_f64 v[34:35], v[154:155], v[34:35]
	v_add_f64 v[40:41], v[158:159], v[40:41]
	;; [unrolled: 1-line block ×6, first 2 shown]
	v_fma_f64 v[60:61], v[50:51], s[12:13], -v[38:39]
	v_fma_f64 v[38:39], v[50:51], s[12:13], v[38:39]
	v_fma_f64 v[66:67], v[50:51], s[6:7], -v[56:57]
	v_add_f64 v[46:47], v[74:75], v[52:53]
	v_fma_f64 v[68:69], v[50:51], s[14:15], -v[30:31]
	v_fma_f64 v[30:31], v[50:51], s[14:15], v[30:31]
	v_add_f64 v[24:25], v[54:55], v[24:25]
	v_fma_f64 v[56:57], v[50:51], s[6:7], v[56:57]
	v_add_f64 v[34:35], v[164:165], v[34:35]
	v_add_f64 v[40:41], v[168:169], v[40:41]
	;; [unrolled: 1-line block ×8, first 2 shown]
	ds_write2_b64 v28, v[20:21], v[22:23] offset0:12 offset1:13
	ds_write2_b64 v28, v[16:17], v[18:19] offset0:14 offset1:15
	;; [unrolled: 1-line block ×7, first 2 shown]
	ds_write2_b64 v28, v[14:15], v[32:33] offset1:1
	ds_write_b64 v28, v[12:13] offset:128
.LBB0_15:
	s_or_b32 exec_lo, exec_lo, s33
	v_and_b32_e32 v7, 0xff, v110
	v_add_nc_u32_e32 v114, 0xaa, v110
	v_mov_b32_e32 v125, 0xf0f1
	v_add_nc_u32_e32 v126, 0x154, v110
	s_waitcnt lgkmcnt(0)
	v_mul_lo_u16 v6, 0xf1, v7
	s_barrier
	v_mul_u32_u24_sdwa v127, v114, v125 dst_sel:DWORD dst_unused:UNUSED_PAD src0_sel:WORD_0 src1_sel:DWORD
	v_mul_u32_u24_sdwa v129, v126, v125 dst_sel:DWORD dst_unused:UNUSED_PAD src0_sel:WORD_0 src1_sel:DWORD
	buffer_gl0_inv
	v_lshrrev_b16 v128, 12, v6
	v_mov_b32_e32 v6, 3
	v_lshrrev_b32_e32 v130, 20, v127
	v_lshrrev_b32_e32 v131, 20, v129
	v_mul_lo_u16 v7, 0x79, v7
	v_mul_lo_u16 v14, v128, 17
	s_mov_b32 s4, 0xe8584caa
	v_mul_lo_u16 v15, v130, 17
	s_mov_b32 s5, 0xbfebb67a
	v_lshrrev_b16 v7, 13, v7
	v_sub_nc_u16 v132, v110, v14
	v_mul_lo_u16 v14, v131, 17
	v_sub_nc_u16 v133, v114, v15
	s_mov_b32 s7, 0x3febb67a
	s_mov_b32 s6, s4
	v_mul_u32_u24_sdwa v15, v132, v6 dst_sel:DWORD dst_unused:UNUSED_PAD src0_sel:BYTE_0 src1_sel:DWORD
	v_sub_nc_u16 v134, v126, v14
	v_mul_u32_u24_sdwa v14, v133, v6 dst_sel:DWORD dst_unused:UNUSED_PAD src0_sel:WORD_0 src1_sel:DWORD
	v_cmp_gt_u32_e64 s0, 34, v110
	v_lshlrev_b32_e32 v15, 4, v15
	v_mul_u32_u24_sdwa v32, v134, v6 dst_sel:DWORD dst_unused:UNUSED_PAD src0_sel:WORD_0 src1_sel:DWORD
	v_lshlrev_b32_e32 v14, 4, v14
	s_clause 0x1
	global_load_dwordx4 v[24:27], v15, s[8:9] offset:16
	global_load_dwordx4 v[28:31], v15, s[8:9]
	v_lshlrev_b32_e32 v56, 4, v32
	s_clause 0x6
	global_load_dwordx4 v[32:35], v15, s[8:9] offset:32
	global_load_dwordx4 v[36:39], v14, s[8:9]
	global_load_dwordx4 v[40:43], v14, s[8:9] offset:16
	global_load_dwordx4 v[44:47], v14, s[8:9] offset:32
	global_load_dwordx4 v[48:51], v56, s[8:9]
	global_load_dwordx4 v[52:55], v56, s[8:9] offset:16
	global_load_dwordx4 v[56:59], v56, s[8:9] offset:32
	ds_read2_b64 v[60:63], v194 offset0:84 offset1:254
	ds_read2_b64 v[64:67], v195 offset0:60 offset1:230
	;; [unrolled: 1-line block ×5, first 2 shown]
	s_waitcnt vmcnt(6) lgkmcnt(2)
	v_mul_f64 v[82:83], v[70:71], v[34:35]
	s_waitcnt vmcnt(5) lgkmcnt(1)
	v_mul_f64 v[84:85], v[72:73], v[38:39]
	s_waitcnt vmcnt(4)
	v_mul_f64 v[115:116], v[66:67], v[42:43]
	v_mul_f64 v[80:81], v[64:65], v[26:27]
	;; [unrolled: 1-line block ×3, first 2 shown]
	s_waitcnt vmcnt(3) lgkmcnt(0)
	v_mul_f64 v[117:118], v[76:77], v[46:47]
	v_mul_f64 v[30:31], v[92:93], v[30:31]
	;; [unrolled: 1-line block ×7, first 2 shown]
	s_waitcnt vmcnt(2)
	v_mul_f64 v[119:120], v[74:75], v[50:51]
	s_waitcnt vmcnt(1)
	v_mul_f64 v[121:122], v[68:69], v[54:55]
	;; [unrolled: 2-line block ×3, first 2 shown]
	v_mul_f64 v[50:51], v[108:109], v[50:51]
	v_mul_f64 v[54:55], v[98:99], v[54:55]
	;; [unrolled: 1-line block ×3, first 2 shown]
	v_fma_f64 v[84:85], v[106:107], v[36:37], v[84:85]
	v_fma_f64 v[96:97], v[96:97], v[40:41], v[115:116]
	;; [unrolled: 1-line block ×6, first 2 shown]
	v_fma_f64 v[28:29], v[62:63], v[28:29], -v[30:31]
	v_fma_f64 v[24:25], v[64:65], v[24:25], -v[26:27]
	;; [unrolled: 1-line block ×3, first 2 shown]
	ds_read2_b64 v[80:83], v111 offset1:170
	v_fma_f64 v[30:31], v[72:73], v[36:37], -v[38:39]
	v_fma_f64 v[32:33], v[66:67], v[40:41], -v[42:43]
	;; [unrolled: 1-line block ×3, first 2 shown]
	v_fma_f64 v[102:103], v[108:109], v[48:49], v[119:120]
	v_fma_f64 v[98:99], v[98:99], v[52:53], v[121:122]
	;; [unrolled: 1-line block ×3, first 2 shown]
	v_fma_f64 v[36:37], v[74:75], v[48:49], -v[50:51]
	v_fma_f64 v[38:39], v[68:69], v[52:53], -v[54:55]
	v_fma_f64 v[40:41], v[78:79], v[56:57], -v[58:59]
	v_add_nc_u32_e32 v70, 0x1fe, v110
	v_mov_b32_e32 v66, 0x220
	v_lshrrev_b32_e32 v123, 22, v127
	v_add_f64 v[46:47], v[88:89], -v[96:97]
	v_lshrrev_b32_e32 v124, 22, v129
	v_mul_u32_u24_sdwa v67, v70, v125 dst_sel:DWORD dst_unused:UNUSED_PAD src0_sel:WORD_0 src1_sel:DWORD
	v_add_f64 v[42:43], v[86:87], -v[92:93]
	v_add_f64 v[44:45], v[14:15], -v[94:95]
	;; [unrolled: 1-line block ×3, first 2 shown]
	v_mul_u32_u24_sdwa v79, v128, v66 dst_sel:DWORD dst_unused:UNUSED_PAD src0_sel:WORD_0 src1_sel:DWORD
	s_waitcnt lgkmcnt(0)
	v_add_f64 v[24:25], v[80:81], -v[24:25]
	v_add_f64 v[26:27], v[28:29], -v[26:27]
	v_lshrrev_b32_e32 v125, 22, v67
	v_mul_lo_u16 v71, 0x44, v7
	v_add_f64 v[32:33], v[82:83], -v[32:33]
	v_add_f64 v[34:35], v[30:31], -v[34:35]
	v_mul_lo_u16 v72, 0x44, v123
	v_add_f64 v[50:51], v[90:91], -v[98:99]
	v_add_f64 v[52:53], v[102:103], -v[104:105]
	;; [unrolled: 3-line block ×3, first 2 shown]
	v_mul_lo_u16 v74, 0x44, v125
	v_sub_nc_u16 v127, v110, v71
	v_sub_nc_u16 v128, v114, v72
	v_fma_f64 v[56:57], v[88:89], 2.0, -v[46:47]
	v_sub_nc_u16 v126, v126, v73
	v_sub_nc_u16 v129, v70, v74
	v_fma_f64 v[54:55], v[86:87], 2.0, -v[42:43]
	v_fma_f64 v[14:15], v[14:15], 2.0, -v[44:45]
	;; [unrolled: 1-line block ×3, first 2 shown]
	v_mul_u32_u24_e32 v84, 0x220, v130
	v_fma_f64 v[66:67], v[80:81], 2.0, -v[24:25]
	v_fma_f64 v[28:29], v[28:29], 2.0, -v[26:27]
	v_add_f64 v[26:27], v[42:43], v[26:27]
	v_add_f64 v[70:71], v[24:25], -v[44:45]
	v_fma_f64 v[68:69], v[82:83], 2.0, -v[32:33]
	v_fma_f64 v[30:31], v[30:31], 2.0, -v[34:35]
	v_add_f64 v[34:35], v[46:47], v[34:35]
	v_fma_f64 v[62:63], v[90:91], 2.0, -v[50:51]
	v_fma_f64 v[64:65], v[102:103], 2.0, -v[52:53]
	v_add_f64 v[48:49], v[32:33], -v[48:49]
	v_fma_f64 v[60:61], v[60:61], 2.0, -v[38:39]
	v_fma_f64 v[36:37], v[36:37], 2.0, -v[40:41]
	v_add_f64 v[40:41], v[50:51], v[40:41]
	v_add_f64 v[52:53], v[38:39], -v[52:53]
	v_mul_u32_u24_e32 v80, 0x220, v131
	v_lshlrev_b32_sdwa v81, v6, v132 dst_sel:DWORD dst_unused:UNUSED_PAD src0_sel:DWORD src1_sel:BYTE_0
	v_mov_b32_e32 v78, 5
	s_barrier
	v_add_f64 v[14:15], v[54:55], -v[14:15]
	v_add_f64 v[58:59], v[56:57], -v[58:59]
	v_add3_u32 v79, 0, v79, v81
	v_lshlrev_b32_sdwa v82, v78, v127 dst_sel:DWORD dst_unused:UNUSED_PAD src0_sel:DWORD src1_sel:BYTE_0
	v_add_f64 v[72:73], v[66:67], -v[28:29]
	v_fma_f64 v[28:29], v[42:43], 2.0, -v[26:27]
	buffer_gl0_inv
	v_lshlrev_b32_sdwa v83, v78, v128 dst_sel:DWORD dst_unused:UNUSED_PAD src0_sel:DWORD src1_sel:WORD_0
	v_add_f64 v[74:75], v[68:69], -v[30:31]
	v_fma_f64 v[30:31], v[46:47], 2.0, -v[34:35]
	v_lshlrev_b32_sdwa v85, v78, v126 dst_sel:DWORD dst_unused:UNUSED_PAD src0_sel:DWORD src1_sel:WORD_0
	v_add_f64 v[64:65], v[62:63], -v[64:65]
	v_add_f64 v[76:77], v[60:61], -v[36:37]
	v_fma_f64 v[44:45], v[50:51], 2.0, -v[40:41]
	v_lshlrev_b32_sdwa v50, v6, v133 dst_sel:DWORD dst_unused:UNUSED_PAD src0_sel:DWORD src1_sel:WORD_0
	v_lshlrev_b32_sdwa v51, v6, v134 dst_sel:DWORD dst_unused:UNUSED_PAD src0_sel:DWORD src1_sel:WORD_0
	v_add3_u32 v81, 0, v84, v50
	v_add3_u32 v80, 0, v80, v51
	v_fma_f64 v[42:43], v[56:57], 2.0, -v[58:59]
	v_fma_f64 v[50:51], v[24:25], 2.0, -v[70:71]
	;; [unrolled: 1-line block ×8, first 2 shown]
	ds_write2_b64 v79, v[14:15], v[26:27] offset0:34 offset1:51
	ds_write2_b64 v79, v[36:37], v[28:29] offset1:17
	ds_write2_b64 v81, v[42:43], v[30:31] offset1:17
	ds_write2_b64 v81, v[58:59], v[34:35] offset0:34 offset1:51
	ds_write2_b64 v80, v[46:47], v[44:45] offset1:17
	ds_write2_b64 v80, v[64:65], v[40:41] offset0:34 offset1:51
	v_fma_f64 v[60:61], v[60:61], 2.0, -v[76:77]
	s_waitcnt lgkmcnt(0)
	s_barrier
	buffer_gl0_inv
	ds_read2_b64 v[24:27], v111 offset1:170
	ds_read2_b64 v[28:31], v198 offset0:40 offset1:210
	ds_read2_b64 v[32:35], v196 offset0:80 offset1:250
	;; [unrolled: 1-line block ×5, first 2 shown]
	s_waitcnt lgkmcnt(0)
	s_barrier
	buffer_gl0_inv
	ds_write2_b64 v79, v[56:57], v[50:51] offset1:17
	ds_write2_b64 v79, v[72:73], v[70:71] offset0:34 offset1:51
	ds_write2_b64 v81, v[66:67], v[54:55] offset1:17
	ds_write2_b64 v81, v[74:75], v[48:49] offset0:34 offset1:51
	;; [unrolled: 2-line block ×3, first 2 shown]
	s_waitcnt lgkmcnt(0)
	s_barrier
	buffer_gl0_inv
	s_clause 0x1
	global_load_dwordx4 v[48:51], v82, s[8:9] offset:832
	global_load_dwordx4 v[52:55], v82, s[8:9] offset:816
	v_lshlrev_b32_sdwa v14, v78, v129 dst_sel:DWORD dst_unused:UNUSED_PAD src0_sel:DWORD src1_sel:WORD_0
	s_clause 0x5
	global_load_dwordx4 v[56:59], v83, s[8:9] offset:816
	global_load_dwordx4 v[70:73], v83, s[8:9] offset:832
	;; [unrolled: 1-line block ×6, first 2 shown]
	ds_read2_b64 v[80:83], v198 offset0:40 offset1:210
	ds_read2_b64 v[98:101], v196 offset0:80 offset1:250
	;; [unrolled: 1-line block ×4, first 2 shown]
	s_waitcnt vmcnt(5) lgkmcnt(3)
	v_mul_f64 v[62:63], v[82:83], v[58:59]
	s_waitcnt vmcnt(4) lgkmcnt(2)
	v_mul_f64 v[64:65], v[100:101], v[72:73]
	v_mul_f64 v[60:61], v[98:99], v[50:51]
	;; [unrolled: 1-line block ×3, first 2 shown]
	s_waitcnt vmcnt(3) lgkmcnt(1)
	v_mul_f64 v[66:67], v[102:103], v[76:77]
	s_waitcnt vmcnt(2) lgkmcnt(0)
	v_mul_f64 v[84:85], v[106:107], v[88:89]
	s_waitcnt vmcnt(1)
	v_mul_f64 v[115:116], v[104:105], v[92:93]
	s_waitcnt vmcnt(0)
	v_mul_f64 v[117:118], v[108:109], v[96:97]
	v_mul_f64 v[54:55], v[28:29], v[54:55]
	;; [unrolled: 1-line block ×9, first 2 shown]
	v_fma_f64 v[62:63], v[30:31], v[56:57], v[62:63]
	v_fma_f64 v[68:69], v[34:35], v[70:71], v[64:65]
	;; [unrolled: 1-line block ×8, first 2 shown]
	v_fma_f64 v[80:81], v[80:81], v[52:53], -v[54:55]
	v_fma_f64 v[60:61], v[98:99], v[48:49], -v[50:51]
	;; [unrolled: 1-line block ×8, first 2 shown]
	v_add_nc_u32_e32 v90, 0xc00, v111
	v_add_nc_u32_e32 v91, 0x1800, v111
	;; [unrolled: 1-line block ×4, first 2 shown]
	v_add_f64 v[44:45], v[26:27], v[62:63]
	v_add_f64 v[30:31], v[62:63], v[68:69]
	;; [unrolled: 1-line block ×8, first 2 shown]
	v_add_f64 v[42:43], v[80:81], -v[60:61]
	v_add_f64 v[46:47], v[82:83], -v[70:71]
	v_add_f64 v[44:45], v[44:45], v[68:69]
	v_fma_f64 v[26:27], v[30:31], -0.5, v[26:27]
	v_add_f64 v[30:31], v[86:87], -v[88:89]
	v_fma_f64 v[24:25], v[28:29], -0.5, v[24:25]
	v_add_f64 v[28:29], v[84:85], -v[74:75]
	v_fma_f64 v[32:33], v[32:33], -0.5, v[36:37]
	v_add_f64 v[40:41], v[40:41], v[78:79]
	v_fma_f64 v[34:35], v[34:35], -0.5, v[38:39]
	v_add_f64 v[48:49], v[48:49], v[72:73]
	v_add_f64 v[50:51], v[50:51], v[66:67]
	v_mov_b32_e32 v36, 0x660
	v_mul_u32_u24_e32 v37, 0x660, v124
	v_mul_u32_u24_e32 v38, 0x660, v125
	v_mul_u32_u24_sdwa v7, v7, v36 dst_sel:DWORD dst_unused:UNUSED_PAD src0_sel:WORD_0 src1_sel:DWORD
	v_mul_u32_u24_e32 v36, 0x660, v123
	v_fma_f64 v[54:55], v[46:47], s[4:5], v[26:27]
	v_fma_f64 v[46:47], v[46:47], s[6:7], v[26:27]
	;; [unrolled: 1-line block ×8, first 2 shown]
	v_lshlrev_b32_sdwa v28, v6, v127 dst_sel:DWORD dst_unused:UNUSED_PAD src0_sel:DWORD src1_sel:BYTE_0
	v_lshlrev_b32_sdwa v29, v6, v128 dst_sel:DWORD dst_unused:UNUSED_PAD src0_sel:DWORD src1_sel:WORD_0
	v_lshlrev_b32_sdwa v30, v6, v126 dst_sel:DWORD dst_unused:UNUSED_PAD src0_sel:DWORD src1_sel:WORD_0
	;; [unrolled: 1-line block ×3, first 2 shown]
                                        ; implicit-def: $vgpr34_vgpr35
	v_add3_u32 v97, 0, v7, v28
	v_add3_u32 v96, 0, v36, v29
	;; [unrolled: 1-line block ×4, first 2 shown]
	ds_read2_b64 v[36:39], v111 offset1:170
	ds_read2_b64 v[28:31], v194 offset0:84 offset1:254
	s_waitcnt lgkmcnt(0)
	s_barrier
	buffer_gl0_inv
	ds_write2_b64 v97, v[40:41], v[52:53] offset1:68
	ds_write_b64 v97, v[42:43] offset:1088
	ds_write2_b64 v96, v[44:45], v[54:55] offset1:68
	ds_write_b64 v96, v[46:47] offset:1088
	;; [unrolled: 2-line block ×4, first 2 shown]
	s_waitcnt lgkmcnt(0)
	s_barrier
	buffer_gl0_inv
	ds_read2_b64 v[40:43], v111 offset1:204
	ds_read2_b64 v[52:55], v90 offset0:24 offset1:228
	ds_read2_b64 v[44:47], v91 offset0:48 offset1:252
	;; [unrolled: 1-line block ×4, first 2 shown]
	s_and_saveexec_b32 s1, s0
	s_cbranch_execz .LBB0_17
; %bb.16:
	v_add_nc_u32_e32 v0, 0x400, v111
	v_add_nc_u32_e32 v1, 0x1200, v111
	;; [unrolled: 1-line block ×5, first 2 shown]
	ds_read2_b64 v[24:27], v0 offset0:42 offset1:246
	ds_read2_b64 v[8:11], v1 offset0:2 offset1:206
	;; [unrolled: 1-line block ×5, first 2 shown]
.LBB0_17:
	s_or_b32 exec_lo, exec_lo, s1
	v_add_f64 v[98:99], v[80:81], v[60:61]
	v_add_f64 v[100:101], v[82:83], v[70:71]
	v_add_f64 v[102:103], v[84:85], v[74:75]
	v_add_f64 v[104:105], v[86:87], v[88:89]
	v_add_f64 v[80:81], v[36:37], v[80:81]
	v_add_f64 v[76:77], v[76:77], -v[78:79]
	v_add_f64 v[78:79], v[38:39], v[82:83]
	v_add_f64 v[82:83], v[28:29], v[84:85]
	v_add_f64 v[62:63], v[62:63], -v[68:69]
	v_add_f64 v[64:65], v[64:65], -v[72:73]
	v_add_f64 v[84:85], v[30:31], v[86:87]
	v_add_f64 v[14:15], v[14:15], -v[66:67]
	s_waitcnt lgkmcnt(0)
	s_barrier
	buffer_gl0_inv
	v_fma_f64 v[36:37], v[98:99], -0.5, v[36:37]
	v_fma_f64 v[38:39], v[100:101], -0.5, v[38:39]
	;; [unrolled: 1-line block ×4, first 2 shown]
	v_add_f64 v[60:61], v[80:81], v[60:61]
	v_add_f64 v[66:67], v[78:79], v[70:71]
	;; [unrolled: 1-line block ×4, first 2 shown]
	v_fma_f64 v[72:73], v[76:77], s[6:7], v[36:37]
	v_fma_f64 v[36:37], v[76:77], s[4:5], v[36:37]
	;; [unrolled: 1-line block ×8, first 2 shown]
	ds_write2_b64 v97, v[60:61], v[72:73] offset1:68
	ds_write_b64 v97, v[36:37] offset:1088
	ds_write2_b64 v96, v[66:67], v[74:75] offset1:68
	ds_write_b64 v96, v[38:39] offset:1088
	;; [unrolled: 2-line block ×4, first 2 shown]
	s_waitcnt lgkmcnt(0)
	s_barrier
	buffer_gl0_inv
	ds_read2_b64 v[60:63], v111 offset1:204
	ds_read2_b64 v[68:71], v90 offset0:24 offset1:228
	ds_read2_b64 v[72:75], v91 offset0:48 offset1:252
	;; [unrolled: 1-line block ×4, first 2 shown]
                                        ; implicit-def: $vgpr38_vgpr39
	s_and_saveexec_b32 s1, s0
	s_cbranch_execz .LBB0_19
; %bb.18:
	v_add_nc_u32_e32 v12, 0x400, v111
	v_add_nc_u32_e32 v13, 0x1200, v111
	;; [unrolled: 1-line block ×5, first 2 shown]
	ds_read2_b64 v[28:31], v12 offset0:42 offset1:246
	ds_read2_b64 v[20:23], v13 offset0:2 offset1:206
	ds_read2_b64 v[16:19], v14 offset0:26 offset1:230
	ds_read2_b64 v[12:15], v15 offset0:50 offset1:254
	ds_read2_b64 v[36:39], v36 offset0:10 offset1:214
.LBB0_19:
	s_or_b32 exec_lo, exec_lo, s1
	s_and_saveexec_b32 s1, vcc_lo
	s_cbranch_execz .LBB0_22
; %bb.20:
	v_mul_u32_u24_e32 v80, 9, v110
	v_mov_b32_e32 v111, 0
	s_mov_b32 s14, 0x134454ff
	s_mov_b32 s15, 0xbfee6f0e
	;; [unrolled: 1-line block ×3, first 2 shown]
	v_lshlrev_b32_e32 v80, 4, v80
	s_mov_b32 s6, s14
	s_mov_b32 s12, 0x4755a5e
	s_mov_b32 s13, 0xbfe2cf23
	s_mov_b32 s11, 0x3fe2cf23
	v_add_co_u32 v80, s1, s8, v80
	v_add_co_ci_u32_e64 v81, null, s9, 0, s1
	s_mov_b32 s10, s12
	v_add_co_u32 v108, vcc_lo, 0x800, v80
	v_add_co_ci_u32_e32 v109, vcc_lo, 0, v81, vcc_lo
	v_add_co_u32 v115, vcc_lo, 0xbf0, v80
	v_add_co_ci_u32_e32 v116, vcc_lo, 0, v81, vcc_lo
	;; [unrolled: 2-line block ×3, first 2 shown]
	s_clause 0x8
	global_load_dwordx4 v[80:83], v[108:109], off offset:1008
	global_load_dwordx4 v[84:87], v[115:116], off offset:32
	global_load_dwordx4 v[88:91], v[100:101], off offset:32
	global_load_dwordx4 v[92:95], v[108:109], off offset:1072
	global_load_dwordx4 v[96:99], v[100:101], off offset:16
	global_load_dwordx4 v[100:103], v[100:101], off offset:48
	global_load_dwordx4 v[104:107], v[115:116], off offset:48
	global_load_dwordx4 v[115:118], v[115:116], off offset:16
	global_load_dwordx4 v[119:122], v[108:109], off offset:944
	v_add_co_u32 v141, vcc_lo, s2, v112
	v_add_co_ci_u32_e32 v142, vcc_lo, s3, v113, vcc_lo
	v_lshlrev_b64 v[112:113], 4, v[110:111]
	s_mov_b32 s4, 0x372fe950
	s_mov_b32 s5, 0x3fd3c6ef
	;; [unrolled: 1-line block ×8, first 2 shown]
	s_waitcnt vmcnt(8)
	v_mul_f64 v[108:109], v[46:47], v[82:83]
	s_waitcnt vmcnt(7)
	v_mul_f64 v[123:124], v[50:51], v[86:87]
	;; [unrolled: 2-line block ×4, first 2 shown]
	v_mul_f64 v[54:55], v[54:55], v[88:89]
	v_mul_f64 v[137:138], v[46:47], v[80:81]
	;; [unrolled: 1-line block ×4, first 2 shown]
	s_waitcnt vmcnt(0)
	v_mul_f64 v[139:140], v[42:43], v[121:122]
	v_mul_f64 v[129:130], v[52:53], v[98:99]
	;; [unrolled: 1-line block ×5, first 2 shown]
	s_waitcnt lgkmcnt(3)
	v_mul_f64 v[98:99], v[68:69], v[98:99]
	s_waitcnt lgkmcnt(0)
	v_mul_f64 v[106:107], v[76:77], v[106:107]
	v_mul_f64 v[102:103], v[72:73], v[102:103]
	;; [unrolled: 1-line block ×3, first 2 shown]
	v_add_co_u32 v46, vcc_lo, v141, v112
	v_add_co_ci_u32_e32 v47, vcc_lo, v142, v113, vcc_lo
	v_fma_f64 v[80:81], v[74:75], v[80:81], -v[108:109]
	v_fma_f64 v[84:85], v[66:67], v[84:85], -v[123:124]
	;; [unrolled: 1-line block ×4, first 2 shown]
	v_mul_f64 v[108:109], v[42:43], v[119:120]
	v_fma_f64 v[54:55], v[70:71], v[90:91], v[54:55]
	v_fma_f64 v[70:71], v[74:75], v[82:83], v[137:138]
	;; [unrolled: 1-line block ×4, first 2 shown]
	v_fma_f64 v[66:67], v[62:63], v[119:120], -v[139:140]
	v_fma_f64 v[68:69], v[68:69], v[96:97], -v[129:130]
	v_fma_f64 v[72:73], v[72:73], v[100:101], -v[131:132]
	v_fma_f64 v[76:77], v[76:77], v[104:105], -v[133:134]
	v_fma_f64 v[64:65], v[64:65], v[115:116], -v[135:136]
	v_fma_f64 v[52:53], v[52:53], v[96:97], v[98:99]
	v_fma_f64 v[56:57], v[56:57], v[104:105], v[106:107]
	;; [unrolled: 1-line block ×4, first 2 shown]
	v_add_co_u32 v42, vcc_lo, 0x800, v46
	v_add_co_ci_u32_e32 v43, vcc_lo, 0, v47, vcc_lo
	v_add_co_u32 v98, vcc_lo, 0x1800, v46
	v_add_f64 v[74:75], v[80:81], v[84:85]
	v_add_f64 v[78:79], v[88:89], v[92:93]
	v_fma_f64 v[62:63], v[62:63], v[121:122], v[108:109]
	v_add_f64 v[117:118], v[80:81], -v[84:85]
	v_add_f64 v[102:103], v[54:55], -v[70:71]
	v_add_f64 v[106:107], v[54:55], v[58:59]
	v_add_f64 v[104:105], v[70:71], v[50:51]
	v_add_f64 v[108:109], v[54:55], -v[58:59]
	v_add_f64 v[112:113], v[70:71], -v[50:51]
	;; [unrolled: 1-line block ×5, first 2 shown]
	v_add_f64 v[90:91], v[72:73], v[64:65]
	v_add_f64 v[119:120], v[88:89], -v[92:93]
	v_add_f64 v[121:122], v[88:89], -v[80:81]
	;; [unrolled: 1-line block ×3, first 2 shown]
	v_add_f64 v[129:130], v[68:69], v[76:77]
	v_add_f64 v[135:136], v[80:81], -v[88:89]
	v_add_f64 v[137:138], v[84:85], -v[92:93]
	v_add_f64 v[139:140], v[96:97], v[48:49]
	v_add_f64 v[141:142], v[52:53], v[56:57]
	v_add_f64 v[94:95], v[52:53], -v[56:57]
	v_fma_f64 v[74:75], v[74:75], -0.5, v[66:67]
	v_fma_f64 v[78:79], v[78:79], -0.5, v[66:67]
	v_add_f64 v[66:67], v[88:89], v[66:67]
	v_add_f64 v[131:132], v[70:71], -v[54:55]
	v_add_f64 v[143:144], v[60:61], v[68:69]
	v_add_f64 v[153:154], v[96:97], -v[52:53]
	v_fma_f64 v[88:89], v[104:105], -0.5, v[62:63]
	v_fma_f64 v[104:105], v[106:107], -0.5, v[62:63]
	v_add_f64 v[106:107], v[52:53], -v[96:97]
	v_add_f64 v[52:53], v[40:41], v[52:53]
	v_add_f64 v[54:55], v[54:55], v[62:63]
	v_add_f64 v[100:101], v[96:97], -v[48:49]
	v_add_f64 v[125:126], v[72:73], -v[68:69]
	;; [unrolled: 1-line block ×6, first 2 shown]
	v_fma_f64 v[62:63], v[90:91], -0.5, v[60:61]
	v_fma_f64 v[60:61], v[129:130], -0.5, v[60:61]
	v_add_f64 v[82:83], v[82:83], v[86:87]
	v_add_f64 v[86:87], v[102:103], v[115:116]
	v_fma_f64 v[90:91], v[139:140], -0.5, v[40:41]
	v_fma_f64 v[147:148], v[108:109], s[14:15], v[74:75]
	v_fma_f64 v[149:150], v[112:113], s[6:7], v[78:79]
	;; [unrolled: 1-line block ×4, first 2 shown]
	v_fma_f64 v[40:41], v[141:142], -0.5, v[40:41]
	v_add_f64 v[102:103], v[121:122], v[123:124]
	v_add_f64 v[115:116], v[135:136], v[137:138]
	v_fma_f64 v[121:122], v[119:120], s[6:7], v[88:89]
	v_fma_f64 v[123:124], v[117:118], s[14:15], v[104:105]
	;; [unrolled: 1-line block ×4, first 2 shown]
	v_add_f64 v[72:73], v[143:144], v[72:73]
	v_add_f64 v[66:67], v[80:81], v[66:67]
	;; [unrolled: 1-line block ×4, first 2 shown]
	v_add_f64 v[145:146], v[56:57], -v[48:49]
	v_add_f64 v[155:156], v[48:49], -v[56:57]
	v_fma_f64 v[70:71], v[94:95], s[14:15], v[62:63]
	v_fma_f64 v[80:81], v[100:101], s[6:7], v[60:61]
	;; [unrolled: 1-line block ×9, first 2 shown]
	v_add_f64 v[108:109], v[125:126], v[127:128]
	v_add_f64 v[112:113], v[131:132], v[133:134]
	v_fma_f64 v[125:126], v[151:152], s[14:15], v[40:41]
	v_fma_f64 v[90:91], v[68:69], s[14:15], v[90:91]
	;; [unrolled: 1-line block ×7, first 2 shown]
	v_add_f64 v[64:65], v[72:73], v[64:65]
	v_add_f64 v[66:67], v[84:85], v[66:67]
	;; [unrolled: 1-line block ×4, first 2 shown]
	v_fma_f64 v[52:53], v[100:101], s[12:13], v[70:71]
	v_fma_f64 v[54:55], v[94:95], s[12:13], v[80:81]
	;; [unrolled: 1-line block ×9, first 2 shown]
	v_add_f64 v[102:103], v[106:107], v[145:146]
	v_add_f64 v[106:107], v[153:154], v[155:156]
	v_fma_f64 v[72:73], v[68:69], s[10:11], v[125:126]
	v_fma_f64 v[80:81], v[151:152], s[12:13], v[90:91]
	;; [unrolled: 1-line block ×7, first 2 shown]
	v_add_f64 v[64:65], v[76:77], v[64:65]
	v_add_f64 v[66:67], v[92:93], v[66:67]
	;; [unrolled: 1-line block ×4, first 2 shown]
	v_fma_f64 v[52:53], v[82:83], s[4:5], v[52:53]
	v_fma_f64 v[54:55], v[108:109], s[4:5], v[54:55]
	;; [unrolled: 1-line block ×3, first 2 shown]
	v_add_co_ci_u32_e32 v99, vcc_lo, 0, v47, vcc_lo
	v_mul_f64 v[88:89], v[117:118], s[16:17]
	v_mul_f64 v[96:97], v[119:120], s[18:19]
	;; [unrolled: 1-line block ×8, first 2 shown]
	v_fma_f64 v[117:118], v[82:83], s[4:5], v[62:63]
	v_fma_f64 v[119:120], v[102:103], s[4:5], v[70:71]
	;; [unrolled: 1-line block ×5, first 2 shown]
	v_add_co_u32 v44, vcc_lo, 0x2000, v46
	v_add_co_ci_u32_e32 v45, vcc_lo, 0, v47, vcc_lo
	v_add_co_u32 v40, vcc_lo, 0x3000, v46
	v_add_f64 v[62:63], v[64:65], v[66:67]
	v_add_f64 v[60:61], v[76:77], v[92:93]
	v_add_f64 v[58:59], v[64:65], -v[66:67]
	v_fma_f64 v[72:73], v[84:85], s[10:11], v[88:89]
	v_fma_f64 v[88:89], v[90:91], s[6:7], v[96:97]
	;; [unrolled: 1-line block ×8, first 2 shown]
	v_add_f64 v[56:57], v[76:77], -v[92:93]
	v_add_co_ci_u32_e32 v41, vcc_lo, 0, v47, vcc_lo
	v_add_co_u32 v48, vcc_lo, 0x3800, v46
	v_add_co_ci_u32_e32 v49, vcc_lo, 0, v47, vcc_lo
	v_add_co_u32 v50, vcc_lo, 0x4800, v46
	v_add_co_ci_u32_e32 v51, vcc_lo, 0, v47, vcc_lo
	v_add_f64 v[82:83], v[52:53], v[72:73]
	v_add_f64 v[70:71], v[54:55], -v[88:89]
	v_add_f64 v[86:87], v[54:55], v[88:89]
	v_add_f64 v[94:95], v[117:118], v[100:101]
	;; [unrolled: 1-line block ×7, first 2 shown]
	v_add_f64 v[78:79], v[117:118], -v[100:101]
	v_add_f64 v[76:77], v[102:103], -v[112:113]
	;; [unrolled: 1-line block ×7, first 2 shown]
	v_add_co_u32 v96, vcc_lo, 0x5800, v46
	v_add_co_ci_u32_e32 v97, vcc_lo, 0, v47, vcc_lo
	v_add_co_u32 v52, vcc_lo, 0x6000, v46
	v_add_co_ci_u32_e32 v53, vcc_lo, 0, v47, vcc_lo
	;; [unrolled: 2-line block ×3, first 2 shown]
	global_store_dwordx4 v[46:47], v[60:63], off
	global_store_dwordx4 v[48:49], v[56:59], off offset:1984
	global_store_dwordx4 v[42:43], v[92:95], off offset:1216
	;; [unrolled: 1-line block ×9, first 2 shown]
	s_and_b32 exec_lo, exec_lo, s0
	s_cbranch_execz .LBB0_22
; %bb.21:
	v_subrev_nc_u32_e32 v56, 34, v110
	v_cndmask_b32_e64 v56, v56, v114, s0
	v_mul_i32_i24_e32 v110, 9, v56
	v_lshlrev_b64 v[56:57], 4, v[110:111]
	v_add_co_u32 v56, vcc_lo, s8, v56
	v_add_co_ci_u32_e32 v57, vcc_lo, s9, v57, vcc_lo
	v_add_co_u32 v80, vcc_lo, 0xbb0, v56
	v_add_co_ci_u32_e32 v81, vcc_lo, 0, v57, vcc_lo
	;; [unrolled: 2-line block ×4, first 2 shown]
	s_clause 0x8
	global_load_dwordx4 v[56:59], v[80:81], off offset:32
	global_load_dwordx4 v[60:63], v[72:73], off offset:1008
	;; [unrolled: 1-line block ×9, first 2 shown]
	s_waitcnt vmcnt(8)
	v_mul_f64 v[92:93], v[10:11], v[58:59]
	s_waitcnt vmcnt(7)
	v_mul_f64 v[94:95], v[2:3], v[62:63]
	;; [unrolled: 2-line block ×5, first 2 shown]
	v_mul_f64 v[58:59], v[22:23], v[58:59]
	v_mul_f64 v[62:63], v[18:19], v[62:63]
	;; [unrolled: 1-line block ×4, first 2 shown]
	s_waitcnt vmcnt(3)
	v_mul_f64 v[102:103], v[20:21], v[78:79]
	v_mul_f64 v[78:79], v[8:9], v[78:79]
	s_waitcnt vmcnt(2)
	v_mul_f64 v[104:105], v[16:17], v[82:83]
	v_mul_f64 v[82:83], v[0:1], v[82:83]
	s_waitcnt vmcnt(1)
	v_mul_f64 v[106:107], v[12:13], v[86:87]
	s_waitcnt vmcnt(0)
	v_mul_f64 v[108:109], v[32:33], v[90:91]
	v_mul_f64 v[86:87], v[4:5], v[86:87]
	;; [unrolled: 1-line block ×4, first 2 shown]
	v_fma_f64 v[22:23], v[22:23], v[56:57], -v[92:93]
	v_fma_f64 v[18:19], v[18:19], v[60:61], -v[94:95]
	;; [unrolled: 1-line block ×5, first 2 shown]
	v_fma_f64 v[10:11], v[10:11], v[56:57], v[58:59]
	v_fma_f64 v[2:3], v[2:3], v[60:61], v[62:63]
	;; [unrolled: 1-line block ×5, first 2 shown]
	v_fma_f64 v[20:21], v[20:21], v[76:77], -v[78:79]
	v_fma_f64 v[0:1], v[0:1], v[80:81], v[104:105]
	v_fma_f64 v[16:17], v[16:17], v[80:81], -v[82:83]
	v_fma_f64 v[4:5], v[4:5], v[84:85], v[106:107]
	v_fma_f64 v[36:37], v[36:37], v[88:89], -v[108:109]
	v_fma_f64 v[12:13], v[12:13], v[84:85], -v[86:87]
	v_fma_f64 v[32:33], v[32:33], v[88:89], v[90:91]
	v_fma_f64 v[26:27], v[26:27], v[72:73], v[74:75]
	v_add_f64 v[100:101], v[22:23], -v[18:19]
	v_add_f64 v[56:57], v[18:19], v[14:15]
	v_add_f64 v[58:59], v[22:23], v[38:39]
	v_add_f64 v[98:99], v[22:23], -v[38:39]
	v_add_f64 v[102:103], v[38:39], -v[14:15]
	;; [unrolled: 1-line block ×3, first 2 shown]
	v_add_f64 v[72:73], v[2:3], v[6:7]
	v_add_f64 v[74:75], v[10:11], v[34:35]
	v_add_f64 v[76:77], v[10:11], -v[34:35]
	v_add_f64 v[78:79], v[2:3], -v[6:7]
	v_add_f64 v[60:61], v[24:25], v[8:9]
	v_add_f64 v[68:69], v[8:9], -v[0:1]
	v_add_f64 v[62:63], v[0:1], v[4:5]
	v_add_f64 v[96:97], v[20:21], v[36:37]
	v_add_f64 v[88:89], v[16:17], v[12:13]
	v_add_f64 v[70:71], v[32:33], -v[4:5]
	v_add_f64 v[80:81], v[8:9], v[32:33]
	v_add_f64 v[106:107], v[14:15], -v[38:39]
	v_add_f64 v[108:109], v[18:19], -v[14:15]
	v_add_f64 v[86:87], v[28:29], v[20:21]
	v_add_f64 v[22:23], v[30:31], v[22:23]
	v_add_f64 v[64:65], v[20:21], -v[36:37]
	v_add_f64 v[66:67], v[16:17], -v[12:13]
	v_fma_f64 v[56:57], v[56:57], -0.5, v[30:31]
	v_fma_f64 v[58:59], v[58:59], -0.5, v[30:31]
	v_add_f64 v[82:83], v[0:1], -v[8:9]
	v_add_f64 v[84:85], v[4:5], -v[32:33]
	;; [unrolled: 1-line block ×3, first 2 shown]
	v_fma_f64 v[72:73], v[72:73], -0.5, v[26:27]
	v_fma_f64 v[74:75], v[74:75], -0.5, v[26:27]
	v_add_f64 v[26:27], v[26:27], v[10:11]
	v_add_f64 v[90:91], v[0:1], -v[4:5]
	v_add_f64 v[116:117], v[10:11], -v[2:3]
	;; [unrolled: 1-line block ×5, first 2 shown]
	v_fma_f64 v[30:31], v[62:63], -0.5, v[24:25]
	v_add_f64 v[0:1], v[60:61], v[0:1]
	v_fma_f64 v[24:25], v[80:81], -0.5, v[24:25]
	v_add_f64 v[60:61], v[68:69], v[70:71]
	v_fma_f64 v[62:63], v[88:89], -0.5, v[28:29]
	v_fma_f64 v[28:29], v[96:97], -0.5, v[28:29]
	v_add_f64 v[68:69], v[100:101], v[102:103]
	v_add_f64 v[70:71], v[104:105], v[106:107]
	v_add_f64 v[92:93], v[20:21], -v[16:17]
	v_fma_f64 v[112:113], v[76:77], s[6:7], v[56:57]
	v_fma_f64 v[114:115], v[78:79], s[14:15], v[58:59]
	;; [unrolled: 1-line block ×4, first 2 shown]
	v_add_f64 v[20:21], v[16:17], -v[20:21]
	v_fma_f64 v[80:81], v[98:99], s[14:15], v[72:73]
	v_fma_f64 v[72:73], v[98:99], s[6:7], v[72:73]
	;; [unrolled: 1-line block ×4, first 2 shown]
	v_add_f64 v[16:17], v[86:87], v[16:17]
	v_add_f64 v[2:3], v[26:27], v[2:3]
	v_add_f64 v[18:19], v[22:23], v[18:19]
	v_add_f64 v[94:95], v[36:37], -v[12:13]
	v_add_f64 v[26:27], v[116:117], v[118:119]
	v_add_f64 v[10:11], v[10:11], v[120:121]
	v_fma_f64 v[22:23], v[64:65], s[14:15], v[30:31]
	v_fma_f64 v[30:31], v[64:65], s[6:7], v[30:31]
	v_add_f64 v[110:111], v[12:13], -v[36:37]
	v_add_f64 v[0:1], v[0:1], v[4:5]
	v_fma_f64 v[96:97], v[78:79], s[10:11], v[112:113]
	v_fma_f64 v[100:101], v[76:77], s[10:11], v[114:115]
	v_fma_f64 v[58:59], v[76:77], s[12:13], v[58:59]
	v_fma_f64 v[56:57], v[78:79], s[12:13], v[56:57]
	v_add_f64 v[76:77], v[82:83], v[84:85]
	v_fma_f64 v[78:79], v[66:67], s[6:7], v[24:25]
	v_fma_f64 v[24:25], v[66:67], s[14:15], v[24:25]
	;; [unrolled: 1-line block ×10, first 2 shown]
	v_add_f64 v[4:5], v[16:17], v[12:13]
	v_add_f64 v[2:3], v[2:3], v[6:7]
	;; [unrolled: 1-line block ×3, first 2 shown]
	v_fma_f64 v[12:13], v[66:67], s[12:13], v[22:23]
	v_fma_f64 v[14:15], v[66:67], s[10:11], v[30:31]
	v_add_f64 v[20:21], v[20:21], v[110:111]
	v_add_f64 v[32:33], v[0:1], v[32:33]
	v_fma_f64 v[88:89], v[68:69], s[4:5], v[96:97]
	v_fma_f64 v[96:97], v[70:71], s[4:5], v[100:101]
	;; [unrolled: 1-line block ×4, first 2 shown]
	v_add_f64 v[68:69], v[92:93], v[94:95]
	v_fma_f64 v[16:17], v[64:65], s[12:13], v[78:79]
	v_fma_f64 v[18:19], v[64:65], s[10:11], v[24:25]
	;; [unrolled: 1-line block ×10, first 2 shown]
	v_add_f64 v[36:37], v[4:5], v[36:37]
	v_add_f64 v[4:5], v[2:3], v[34:35]
	;; [unrolled: 1-line block ×3, first 2 shown]
	v_fma_f64 v[34:35], v[60:61], s[4:5], v[12:13]
	v_fma_f64 v[38:39], v[60:61], s[4:5], v[14:15]
	v_mul_f64 v[64:65], v[88:89], s[12:13]
	v_mul_f64 v[66:67], v[96:97], s[14:15]
	;; [unrolled: 1-line block ×8, first 2 shown]
	v_fma_f64 v[80:81], v[68:69], s[4:5], v[22:23]
	v_fma_f64 v[68:69], v[68:69], s[4:5], v[24:25]
	;; [unrolled: 1-line block ×6, first 2 shown]
	v_add_f64 v[0:1], v[32:33], v[4:5]
	v_add_f64 v[2:3], v[36:37], v[6:7]
	v_add_f64 v[4:5], v[32:33], -v[4:5]
	v_add_f64 v[6:7], v[36:37], -v[6:7]
	v_fma_f64 v[24:25], v[28:29], s[20:21], v[64:65]
	v_fma_f64 v[64:65], v[62:63], s[4:5], v[66:67]
	;; [unrolled: 1-line block ×8, first 2 shown]
	v_add_f64 v[8:9], v[34:35], v[24:25]
	v_add_f64 v[12:13], v[60:61], v[64:65]
	;; [unrolled: 1-line block ×8, first 2 shown]
	v_add_f64 v[24:25], v[34:35], -v[24:25]
	v_add_f64 v[26:27], v[80:81], -v[72:73]
	;; [unrolled: 1-line block ×8, first 2 shown]
	v_add_co_u32 v56, vcc_lo, 0x1000, v46
	v_add_co_ci_u32_e32 v57, vcc_lo, 0, v47, vcc_lo
	v_add_co_u32 v58, vcc_lo, 0x5000, v46
	v_add_co_ci_u32_e32 v59, vcc_lo, 0, v47, vcc_lo
	;; [unrolled: 2-line block ×3, first 2 shown]
	global_store_dwordx4 v[42:43], v[0:3], off offset:672
	global_store_dwordx4 v[50:51], v[4:7], off offset:608
	;; [unrolled: 1-line block ×10, first 2 shown]
.LBB0_22:
	s_endpgm
	.section	.rodata,"a",@progbits
	.p2align	6, 0x0
	.amdhsa_kernel fft_rtc_back_len2040_factors_17_4_3_10_wgs_170_tpt_170_halfLds_dp_ip_CI_unitstride_sbrr_dirReg
		.amdhsa_group_segment_fixed_size 0
		.amdhsa_private_segment_fixed_size 0
		.amdhsa_kernarg_size 88
		.amdhsa_user_sgpr_count 6
		.amdhsa_user_sgpr_private_segment_buffer 1
		.amdhsa_user_sgpr_dispatch_ptr 0
		.amdhsa_user_sgpr_queue_ptr 0
		.amdhsa_user_sgpr_kernarg_segment_ptr 1
		.amdhsa_user_sgpr_dispatch_id 0
		.amdhsa_user_sgpr_flat_scratch_init 0
		.amdhsa_user_sgpr_private_segment_size 0
		.amdhsa_wavefront_size32 1
		.amdhsa_uses_dynamic_stack 0
		.amdhsa_system_sgpr_private_segment_wavefront_offset 0
		.amdhsa_system_sgpr_workgroup_id_x 1
		.amdhsa_system_sgpr_workgroup_id_y 0
		.amdhsa_system_sgpr_workgroup_id_z 0
		.amdhsa_system_sgpr_workgroup_info 0
		.amdhsa_system_vgpr_workitem_id 0
		.amdhsa_next_free_vgpr 252
		.amdhsa_next_free_sgpr 56
		.amdhsa_reserve_vcc 1
		.amdhsa_reserve_flat_scratch 0
		.amdhsa_float_round_mode_32 0
		.amdhsa_float_round_mode_16_64 0
		.amdhsa_float_denorm_mode_32 3
		.amdhsa_float_denorm_mode_16_64 3
		.amdhsa_dx10_clamp 1
		.amdhsa_ieee_mode 1
		.amdhsa_fp16_overflow 0
		.amdhsa_workgroup_processor_mode 1
		.amdhsa_memory_ordered 1
		.amdhsa_forward_progress 0
		.amdhsa_shared_vgpr_count 0
		.amdhsa_exception_fp_ieee_invalid_op 0
		.amdhsa_exception_fp_denorm_src 0
		.amdhsa_exception_fp_ieee_div_zero 0
		.amdhsa_exception_fp_ieee_overflow 0
		.amdhsa_exception_fp_ieee_underflow 0
		.amdhsa_exception_fp_ieee_inexact 0
		.amdhsa_exception_int_div_zero 0
	.end_amdhsa_kernel
	.text
.Lfunc_end0:
	.size	fft_rtc_back_len2040_factors_17_4_3_10_wgs_170_tpt_170_halfLds_dp_ip_CI_unitstride_sbrr_dirReg, .Lfunc_end0-fft_rtc_back_len2040_factors_17_4_3_10_wgs_170_tpt_170_halfLds_dp_ip_CI_unitstride_sbrr_dirReg
                                        ; -- End function
	.section	.AMDGPU.csdata,"",@progbits
; Kernel info:
; codeLenInByte = 15680
; NumSgprs: 58
; NumVgprs: 252
; ScratchSize: 0
; MemoryBound: 1
; FloatMode: 240
; IeeeMode: 1
; LDSByteSize: 0 bytes/workgroup (compile time only)
; SGPRBlocks: 7
; VGPRBlocks: 31
; NumSGPRsForWavesPerEU: 58
; NumVGPRsForWavesPerEU: 252
; Occupancy: 4
; WaveLimiterHint : 1
; COMPUTE_PGM_RSRC2:SCRATCH_EN: 0
; COMPUTE_PGM_RSRC2:USER_SGPR: 6
; COMPUTE_PGM_RSRC2:TRAP_HANDLER: 0
; COMPUTE_PGM_RSRC2:TGID_X_EN: 1
; COMPUTE_PGM_RSRC2:TGID_Y_EN: 0
; COMPUTE_PGM_RSRC2:TGID_Z_EN: 0
; COMPUTE_PGM_RSRC2:TIDIG_COMP_CNT: 0
	.text
	.p2alignl 6, 3214868480
	.fill 48, 4, 3214868480
	.type	__hip_cuid_ff4096296fe4d7f,@object ; @__hip_cuid_ff4096296fe4d7f
	.section	.bss,"aw",@nobits
	.globl	__hip_cuid_ff4096296fe4d7f
__hip_cuid_ff4096296fe4d7f:
	.byte	0                               ; 0x0
	.size	__hip_cuid_ff4096296fe4d7f, 1

	.ident	"AMD clang version 19.0.0git (https://github.com/RadeonOpenCompute/llvm-project roc-6.4.0 25133 c7fe45cf4b819c5991fe208aaa96edf142730f1d)"
	.section	".note.GNU-stack","",@progbits
	.addrsig
	.addrsig_sym __hip_cuid_ff4096296fe4d7f
	.amdgpu_metadata
---
amdhsa.kernels:
  - .args:
      - .actual_access:  read_only
        .address_space:  global
        .offset:         0
        .size:           8
        .value_kind:     global_buffer
      - .offset:         8
        .size:           8
        .value_kind:     by_value
      - .actual_access:  read_only
        .address_space:  global
        .offset:         16
        .size:           8
        .value_kind:     global_buffer
      - .actual_access:  read_only
        .address_space:  global
        .offset:         24
        .size:           8
        .value_kind:     global_buffer
      - .offset:         32
        .size:           8
        .value_kind:     by_value
      - .actual_access:  read_only
        .address_space:  global
        .offset:         40
        .size:           8
        .value_kind:     global_buffer
      - .actual_access:  read_only
        .address_space:  global
        .offset:         48
        .size:           8
        .value_kind:     global_buffer
      - .offset:         56
        .size:           4
        .value_kind:     by_value
      - .actual_access:  read_only
        .address_space:  global
        .offset:         64
        .size:           8
        .value_kind:     global_buffer
      - .actual_access:  read_only
        .address_space:  global
        .offset:         72
        .size:           8
        .value_kind:     global_buffer
      - .address_space:  global
        .offset:         80
        .size:           8
        .value_kind:     global_buffer
    .group_segment_fixed_size: 0
    .kernarg_segment_align: 8
    .kernarg_segment_size: 88
    .language:       OpenCL C
    .language_version:
      - 2
      - 0
    .max_flat_workgroup_size: 170
    .name:           fft_rtc_back_len2040_factors_17_4_3_10_wgs_170_tpt_170_halfLds_dp_ip_CI_unitstride_sbrr_dirReg
    .private_segment_fixed_size: 0
    .sgpr_count:     58
    .sgpr_spill_count: 0
    .symbol:         fft_rtc_back_len2040_factors_17_4_3_10_wgs_170_tpt_170_halfLds_dp_ip_CI_unitstride_sbrr_dirReg.kd
    .uniform_work_group_size: 1
    .uses_dynamic_stack: false
    .vgpr_count:     252
    .vgpr_spill_count: 0
    .wavefront_size: 32
    .workgroup_processor_mode: 1
amdhsa.target:   amdgcn-amd-amdhsa--gfx1030
amdhsa.version:
  - 1
  - 2
...

	.end_amdgpu_metadata
